;; amdgpu-corpus repo=ROCm/rocFFT kind=compiled arch=gfx906 opt=O3
	.text
	.amdgcn_target "amdgcn-amd-amdhsa--gfx906"
	.amdhsa_code_object_version 6
	.protected	fft_rtc_back_len150_factors_10_5_3_wgs_60_tpt_5_halfLds_dp_ip_CI_unitstride_sbrr_C2R_dirReg ; -- Begin function fft_rtc_back_len150_factors_10_5_3_wgs_60_tpt_5_halfLds_dp_ip_CI_unitstride_sbrr_C2R_dirReg
	.globl	fft_rtc_back_len150_factors_10_5_3_wgs_60_tpt_5_halfLds_dp_ip_CI_unitstride_sbrr_C2R_dirReg
	.p2align	8
	.type	fft_rtc_back_len150_factors_10_5_3_wgs_60_tpt_5_halfLds_dp_ip_CI_unitstride_sbrr_C2R_dirReg,@function
fft_rtc_back_len150_factors_10_5_3_wgs_60_tpt_5_halfLds_dp_ip_CI_unitstride_sbrr_C2R_dirReg: ; @fft_rtc_back_len150_factors_10_5_3_wgs_60_tpt_5_halfLds_dp_ip_CI_unitstride_sbrr_C2R_dirReg
; %bb.0:
	s_load_dwordx2 s[2:3], s[4:5], 0x50
	s_load_dwordx4 s[8:11], s[4:5], 0x0
	s_load_dwordx2 s[12:13], s[4:5], 0x18
	v_mul_u32_u24_e32 v1, 0x3334, v0
	v_lshrrev_b32_e32 v1, 16, v1
	v_mad_u64_u32 v[1:2], s[0:1], s6, 12, v[1:2]
	v_mov_b32_e32 v5, 0
	s_waitcnt lgkmcnt(0)
	v_cmp_lt_u64_e64 s[0:1], s[10:11], 2
	v_mov_b32_e32 v2, v5
	v_mov_b32_e32 v3, 0
	;; [unrolled: 1-line block ×3, first 2 shown]
	s_and_b64 vcc, exec, s[0:1]
	v_mov_b32_e32 v4, 0
	v_mov_b32_e32 v9, v1
	s_cbranch_vccnz .LBB0_8
; %bb.1:
	s_load_dwordx2 s[0:1], s[4:5], 0x10
	s_add_u32 s6, s12, 8
	s_addc_u32 s7, s13, 0
	v_mov_b32_e32 v3, 0
	v_mov_b32_e32 v8, v2
	s_waitcnt lgkmcnt(0)
	s_add_u32 s16, s0, 8
	s_mov_b64 s[14:15], 1
	v_mov_b32_e32 v4, 0
	s_addc_u32 s17, s1, 0
	v_mov_b32_e32 v7, v1
.LBB0_2:                                ; =>This Inner Loop Header: Depth=1
	s_load_dwordx2 s[18:19], s[16:17], 0x0
                                        ; implicit-def: $vgpr9_vgpr10
	s_waitcnt lgkmcnt(0)
	v_or_b32_e32 v6, s19, v8
	v_cmp_ne_u64_e32 vcc, 0, v[5:6]
	s_and_saveexec_b64 s[0:1], vcc
	s_xor_b64 s[20:21], exec, s[0:1]
	s_cbranch_execz .LBB0_4
; %bb.3:                                ;   in Loop: Header=BB0_2 Depth=1
	v_cvt_f32_u32_e32 v2, s18
	v_cvt_f32_u32_e32 v6, s19
	s_sub_u32 s0, 0, s18
	s_subb_u32 s1, 0, s19
	v_mac_f32_e32 v2, 0x4f800000, v6
	v_rcp_f32_e32 v2, v2
	v_mul_f32_e32 v2, 0x5f7ffffc, v2
	v_mul_f32_e32 v6, 0x2f800000, v2
	v_trunc_f32_e32 v6, v6
	v_mac_f32_e32 v2, 0xcf800000, v6
	v_cvt_u32_f32_e32 v6, v6
	v_cvt_u32_f32_e32 v2, v2
	v_mul_lo_u32 v9, s0, v6
	v_mul_hi_u32 v10, s0, v2
	v_mul_lo_u32 v12, s1, v2
	v_mul_lo_u32 v11, s0, v2
	v_add_u32_e32 v9, v10, v9
	v_add_u32_e32 v9, v9, v12
	v_mul_hi_u32 v10, v2, v11
	v_mul_lo_u32 v12, v2, v9
	v_mul_hi_u32 v14, v2, v9
	v_mul_hi_u32 v13, v6, v11
	v_mul_lo_u32 v11, v6, v11
	v_mul_hi_u32 v15, v6, v9
	v_add_co_u32_e32 v10, vcc, v10, v12
	v_addc_co_u32_e32 v12, vcc, 0, v14, vcc
	v_mul_lo_u32 v9, v6, v9
	v_add_co_u32_e32 v10, vcc, v10, v11
	v_addc_co_u32_e32 v10, vcc, v12, v13, vcc
	v_addc_co_u32_e32 v11, vcc, 0, v15, vcc
	v_add_co_u32_e32 v9, vcc, v10, v9
	v_addc_co_u32_e32 v10, vcc, 0, v11, vcc
	v_add_co_u32_e32 v2, vcc, v2, v9
	v_addc_co_u32_e32 v6, vcc, v6, v10, vcc
	v_mul_lo_u32 v9, s0, v6
	v_mul_hi_u32 v10, s0, v2
	v_mul_lo_u32 v11, s1, v2
	v_mul_lo_u32 v12, s0, v2
	v_add_u32_e32 v9, v10, v9
	v_add_u32_e32 v9, v9, v11
	v_mul_lo_u32 v13, v2, v9
	v_mul_hi_u32 v14, v2, v12
	v_mul_hi_u32 v15, v2, v9
	;; [unrolled: 1-line block ×3, first 2 shown]
	v_mul_lo_u32 v12, v6, v12
	v_mul_hi_u32 v10, v6, v9
	v_add_co_u32_e32 v13, vcc, v14, v13
	v_addc_co_u32_e32 v14, vcc, 0, v15, vcc
	v_mul_lo_u32 v9, v6, v9
	v_add_co_u32_e32 v12, vcc, v13, v12
	v_addc_co_u32_e32 v11, vcc, v14, v11, vcc
	v_addc_co_u32_e32 v10, vcc, 0, v10, vcc
	v_add_co_u32_e32 v9, vcc, v11, v9
	v_addc_co_u32_e32 v10, vcc, 0, v10, vcc
	v_add_co_u32_e32 v2, vcc, v2, v9
	v_addc_co_u32_e32 v6, vcc, v6, v10, vcc
	v_mad_u64_u32 v[9:10], s[0:1], v7, v6, 0
	v_mul_hi_u32 v11, v7, v2
	v_add_co_u32_e32 v13, vcc, v11, v9
	v_addc_co_u32_e32 v14, vcc, 0, v10, vcc
	v_mad_u64_u32 v[9:10], s[0:1], v8, v2, 0
	v_mad_u64_u32 v[11:12], s[0:1], v8, v6, 0
	v_add_co_u32_e32 v2, vcc, v13, v9
	v_addc_co_u32_e32 v2, vcc, v14, v10, vcc
	v_addc_co_u32_e32 v6, vcc, 0, v12, vcc
	v_add_co_u32_e32 v2, vcc, v2, v11
	v_addc_co_u32_e32 v6, vcc, 0, v6, vcc
	v_mul_lo_u32 v11, s19, v2
	v_mul_lo_u32 v12, s18, v6
	v_mad_u64_u32 v[9:10], s[0:1], s18, v2, 0
	v_add3_u32 v10, v10, v12, v11
	v_sub_u32_e32 v11, v8, v10
	v_mov_b32_e32 v12, s19
	v_sub_co_u32_e32 v9, vcc, v7, v9
	v_subb_co_u32_e64 v11, s[0:1], v11, v12, vcc
	v_subrev_co_u32_e64 v12, s[0:1], s18, v9
	v_subbrev_co_u32_e64 v11, s[0:1], 0, v11, s[0:1]
	v_cmp_le_u32_e64 s[0:1], s19, v11
	v_cndmask_b32_e64 v13, 0, -1, s[0:1]
	v_cmp_le_u32_e64 s[0:1], s18, v12
	v_cndmask_b32_e64 v12, 0, -1, s[0:1]
	v_cmp_eq_u32_e64 s[0:1], s19, v11
	v_cndmask_b32_e64 v11, v13, v12, s[0:1]
	v_add_co_u32_e64 v12, s[0:1], 2, v2
	v_addc_co_u32_e64 v13, s[0:1], 0, v6, s[0:1]
	v_add_co_u32_e64 v14, s[0:1], 1, v2
	v_addc_co_u32_e64 v15, s[0:1], 0, v6, s[0:1]
	v_subb_co_u32_e32 v10, vcc, v8, v10, vcc
	v_cmp_ne_u32_e64 s[0:1], 0, v11
	v_cmp_le_u32_e32 vcc, s19, v10
	v_cndmask_b32_e64 v11, v15, v13, s[0:1]
	v_cndmask_b32_e64 v13, 0, -1, vcc
	v_cmp_le_u32_e32 vcc, s18, v9
	v_cndmask_b32_e64 v9, 0, -1, vcc
	v_cmp_eq_u32_e32 vcc, s19, v10
	v_cndmask_b32_e32 v9, v13, v9, vcc
	v_cmp_ne_u32_e32 vcc, 0, v9
	v_cndmask_b32_e32 v10, v6, v11, vcc
	v_cndmask_b32_e64 v6, v14, v12, s[0:1]
	v_cndmask_b32_e32 v9, v2, v6, vcc
.LBB0_4:                                ;   in Loop: Header=BB0_2 Depth=1
	s_andn2_saveexec_b64 s[0:1], s[20:21]
	s_cbranch_execz .LBB0_6
; %bb.5:                                ;   in Loop: Header=BB0_2 Depth=1
	v_cvt_f32_u32_e32 v2, s18
	s_sub_i32 s20, 0, s18
	v_rcp_iflag_f32_e32 v2, v2
	v_mul_f32_e32 v2, 0x4f7ffffe, v2
	v_cvt_u32_f32_e32 v2, v2
	v_mul_lo_u32 v6, s20, v2
	v_mul_hi_u32 v6, v2, v6
	v_add_u32_e32 v2, v2, v6
	v_mul_hi_u32 v2, v7, v2
	v_mul_lo_u32 v6, v2, s18
	v_add_u32_e32 v9, 1, v2
	v_sub_u32_e32 v6, v7, v6
	v_subrev_u32_e32 v10, s18, v6
	v_cmp_le_u32_e32 vcc, s18, v6
	v_cndmask_b32_e32 v6, v6, v10, vcc
	v_cndmask_b32_e32 v2, v2, v9, vcc
	v_add_u32_e32 v9, 1, v2
	v_cmp_le_u32_e32 vcc, s18, v6
	v_cndmask_b32_e32 v9, v2, v9, vcc
	v_mov_b32_e32 v10, v5
.LBB0_6:                                ;   in Loop: Header=BB0_2 Depth=1
	s_or_b64 exec, exec, s[0:1]
	v_mul_lo_u32 v2, v10, s18
	v_mul_lo_u32 v6, v9, s19
	v_mad_u64_u32 v[11:12], s[0:1], v9, s18, 0
	s_load_dwordx2 s[0:1], s[6:7], 0x0
	s_add_u32 s14, s14, 1
	v_add3_u32 v2, v12, v6, v2
	v_sub_co_u32_e32 v6, vcc, v7, v11
	v_subb_co_u32_e32 v2, vcc, v8, v2, vcc
	s_waitcnt lgkmcnt(0)
	v_mul_lo_u32 v2, s0, v2
	v_mul_lo_u32 v7, s1, v6
	v_mad_u64_u32 v[3:4], s[0:1], s0, v6, v[3:4]
	s_addc_u32 s15, s15, 0
	s_add_u32 s6, s6, 8
	v_add3_u32 v4, v7, v4, v2
	v_mov_b32_e32 v6, s10
	v_mov_b32_e32 v7, s11
	s_addc_u32 s7, s7, 0
	v_cmp_ge_u64_e32 vcc, s[14:15], v[6:7]
	s_add_u32 s16, s16, 8
	s_addc_u32 s17, s17, 0
	s_cbranch_vccnz .LBB0_8
; %bb.7:                                ;   in Loop: Header=BB0_2 Depth=1
	v_mov_b32_e32 v7, v9
	v_mov_b32_e32 v8, v10
	s_branch .LBB0_2
.LBB0_8:
	s_lshl_b64 s[0:1], s[10:11], 3
	s_add_u32 s0, s12, s0
	s_addc_u32 s1, s13, s1
	s_load_dwordx2 s[0:1], s[0:1], 0x0
	s_mov_b32 s6, 0xaaaaaaab
	v_mul_hi_u32 v2, v1, s6
	s_waitcnt lgkmcnt(0)
	v_mul_lo_u32 v5, s0, v10
	v_mul_lo_u32 v6, s1, v9
	v_mad_u64_u32 v[3:4], s[0:1], s0, v9, v[3:4]
	v_lshrrev_b32_e32 v2, 3, v2
	s_load_dwordx2 s[0:1], s[4:5], 0x20
	v_mul_lo_u32 v2, v2, 12
	s_mov_b32 s4, 0x33333334
	v_add3_u32 v4, v6, v4, v5
	v_mul_hi_u32 v5, v0, s4
	v_sub_u32_e32 v1, v1, v2
	v_mul_u32_u24_e32 v2, 0x97, v1
	s_waitcnt lgkmcnt(0)
	v_cmp_gt_u64_e32 vcc, s[0:1], v[9:10]
	v_mul_u32_u24_e32 v1, 5, v5
	v_lshlrev_b64 v[38:39], 4, v[3:4]
	v_sub_u32_e32 v36, v0, v1
	v_lshlrev_b32_e32 v108, 4, v2
	s_and_saveexec_b64 s[4:5], vcc
	s_cbranch_execz .LBB0_12
; %bb.9:
	v_mov_b32_e32 v37, 0
	v_mov_b32_e32 v1, s3
	v_add_co_u32_e64 v0, s[0:1], s2, v38
	v_lshlrev_b64 v[3:4], 4, v[36:37]
	v_addc_co_u32_e64 v1, s[0:1], v1, v39, s[0:1]
	v_add_co_u32_e64 v125, s[0:1], v0, v3
	v_addc_co_u32_e64 v126, s[0:1], v1, v4, s[0:1]
	global_load_dwordx4 v[4:7], v[125:126], off
	global_load_dwordx4 v[8:11], v[125:126], off offset:80
	global_load_dwordx4 v[12:15], v[125:126], off offset:160
	;; [unrolled: 1-line block ×28, first 2 shown]
	s_nop 0
	global_load_dwordx4 v[125:128], v[125:126], off offset:2320
	v_lshlrev_b32_e32 v3, 4, v36
	v_add3_u32 v3, 0, v108, v3
	v_cmp_eq_u32_e64 s[0:1], 4, v36
	s_waitcnt vmcnt(29)
	ds_write_b128 v3, v[4:7]
	s_waitcnt vmcnt(28)
	ds_write_b128 v3, v[8:11] offset:80
	s_waitcnt vmcnt(27)
	ds_write_b128 v3, v[12:15] offset:160
	s_waitcnt vmcnt(26)
	ds_write_b128 v3, v[16:19] offset:240
	s_waitcnt vmcnt(25)
	ds_write_b128 v3, v[20:23] offset:320
	s_waitcnt vmcnt(24)
	ds_write_b128 v3, v[24:27] offset:400
	s_waitcnt vmcnt(23)
	ds_write_b128 v3, v[28:31] offset:480
	s_waitcnt vmcnt(22)
	ds_write_b128 v3, v[32:35] offset:560
	s_waitcnt vmcnt(21)
	ds_write_b128 v3, v[40:43] offset:640
	s_waitcnt vmcnt(20)
	ds_write_b128 v3, v[44:47] offset:720
	s_waitcnt vmcnt(19)
	ds_write_b128 v3, v[48:51] offset:800
	s_waitcnt vmcnt(18)
	ds_write_b128 v3, v[52:55] offset:880
	s_waitcnt vmcnt(17)
	ds_write_b128 v3, v[56:59] offset:960
	s_waitcnt vmcnt(16)
	ds_write_b128 v3, v[60:63] offset:1040
	s_waitcnt vmcnt(15)
	ds_write_b128 v3, v[64:67] offset:1120
	s_waitcnt vmcnt(14)
	ds_write_b128 v3, v[68:71] offset:1200
	s_waitcnt vmcnt(13)
	ds_write_b128 v3, v[72:75] offset:1280
	s_waitcnt vmcnt(12)
	ds_write_b128 v3, v[76:79] offset:1360
	s_waitcnt vmcnt(11)
	ds_write_b128 v3, v[80:83] offset:1440
	s_waitcnt vmcnt(10)
	ds_write_b128 v3, v[84:87] offset:1520
	s_waitcnt vmcnt(9)
	ds_write_b128 v3, v[88:91] offset:1600
	s_waitcnt vmcnt(8)
	ds_write_b128 v3, v[92:95] offset:1680
	s_waitcnt vmcnt(7)
	ds_write_b128 v3, v[96:99] offset:1760
	s_waitcnt vmcnt(6)
	ds_write_b128 v3, v[100:103] offset:1840
	s_waitcnt vmcnt(5)
	ds_write_b128 v3, v[104:107] offset:1920
	s_waitcnt vmcnt(4)
	ds_write_b128 v3, v[109:112] offset:2000
	s_waitcnt vmcnt(3)
	ds_write_b128 v3, v[113:116] offset:2080
	s_waitcnt vmcnt(2)
	ds_write_b128 v3, v[117:120] offset:2160
	s_waitcnt vmcnt(1)
	ds_write_b128 v3, v[121:124] offset:2240
	s_waitcnt vmcnt(0)
	ds_write_b128 v3, v[125:128] offset:2320
	s_and_saveexec_b64 s[6:7], s[0:1]
	s_cbranch_execz .LBB0_11
; %bb.10:
	global_load_dwordx4 v[4:7], v[0:1], off offset:2400
	v_mov_b32_e32 v36, 4
	s_waitcnt vmcnt(0)
	ds_write_b128 v3, v[4:7] offset:2336
.LBB0_11:
	s_or_b64 exec, exec, s[6:7]
.LBB0_12:
	s_or_b64 exec, exec, s[4:5]
	v_lshl_add_u32 v106, v2, 4, 0
	v_lshlrev_b32_e32 v10, 4, v36
	v_add_u32_e32 v107, v106, v10
	s_waitcnt lgkmcnt(0)
	; wave barrier
	s_waitcnt lgkmcnt(0)
	v_sub_u32_e32 v12, v106, v10
	ds_read_b64 v[6:7], v107
	ds_read_b64 v[8:9], v12 offset:2400
	v_cmp_ne_u32_e64 s[0:1], 0, v36
                                        ; implicit-def: $vgpr4_vgpr5
	s_waitcnt lgkmcnt(0)
	v_add_f64 v[0:1], v[6:7], v[8:9]
	v_add_f64 v[2:3], v[6:7], -v[8:9]
	s_and_saveexec_b64 s[4:5], s[0:1]
	s_xor_b64 s[4:5], exec, s[4:5]
	s_cbranch_execz .LBB0_14
; %bb.13:
	v_mov_b32_e32 v37, 0
	v_lshlrev_b64 v[0:1], 4, v[36:37]
	v_mov_b32_e32 v2, s9
	v_add_co_u32_e64 v0, s[0:1], s8, v0
	v_addc_co_u32_e64 v1, s[0:1], v2, v1, s[0:1]
	global_load_dwordx4 v[2:5], v[0:1], off offset:2240
	ds_read_b64 v[0:1], v12 offset:2408
	ds_read_b64 v[13:14], v107 offset:8
	v_add_f64 v[15:16], v[6:7], v[8:9]
	v_add_f64 v[8:9], v[6:7], -v[8:9]
	s_waitcnt lgkmcnt(0)
	v_add_f64 v[17:18], v[0:1], v[13:14]
	v_add_f64 v[0:1], v[13:14], -v[0:1]
	s_waitcnt vmcnt(0)
	v_fma_f64 v[6:7], -v[8:9], v[4:5], v[15:16]
	v_fma_f64 v[13:14], v[17:18], v[4:5], -v[0:1]
	v_fma_f64 v[15:16], v[8:9], v[4:5], v[15:16]
	v_fma_f64 v[19:20], v[17:18], v[4:5], v[0:1]
	;; [unrolled: 1-line block ×4, first 2 shown]
	v_fma_f64 v[0:1], -v[17:18], v[2:3], v[15:16]
	v_fma_f64 v[2:3], v[8:9], v[2:3], v[19:20]
	ds_write_b128 v12, v[4:7] offset:2400
	v_mov_b32_e32 v4, v36
	v_mov_b32_e32 v5, v37
.LBB0_14:
	s_andn2_saveexec_b64 s[0:1], s[4:5]
	s_cbranch_execz .LBB0_16
; %bb.15:
	ds_read_b128 v[4:7], v106 offset:1200
	s_waitcnt lgkmcnt(0)
	v_add_f64 v[13:14], v[4:5], v[4:5]
	v_mul_f64 v[15:16], v[6:7], -2.0
	v_mov_b32_e32 v4, 0
	v_mov_b32_e32 v5, 0
	ds_write_b128 v106, v[13:16] offset:1200
.LBB0_16:
	s_or_b64 exec, exec, s[0:1]
	s_add_u32 s0, s8, 0x8c0
	v_lshlrev_b64 v[4:5], 4, v[4:5]
	s_addc_u32 s1, s9, 0
	v_mov_b32_e32 v6, s1
	v_add_co_u32_e64 v4, s[0:1], s0, v4
	v_addc_co_u32_e64 v5, s[0:1], v6, v5, s[0:1]
	global_load_dwordx4 v[6:9], v[4:5], off offset:80
	global_load_dwordx4 v[13:16], v[4:5], off offset:160
	ds_write_b128 v107, v[0:3]
	ds_read_b128 v[0:3], v107 offset:80
	ds_read_b128 v[17:20], v12 offset:2320
	global_load_dwordx4 v[21:24], v[4:5], off offset:240
	v_add3_u32 v37, 0, v10, v108
	s_mov_b32 s10, 0x134454ff
	s_mov_b32 s11, 0xbfee6f0e
	s_waitcnt lgkmcnt(0)
	v_add_f64 v[25:26], v[0:1], v[17:18]
	v_add_f64 v[27:28], v[19:20], v[2:3]
	v_add_f64 v[29:30], v[0:1], -v[17:18]
	v_add_f64 v[0:1], v[2:3], -v[19:20]
	s_mov_b32 s13, 0x3fee6f0e
	s_mov_b32 s12, s10
	;; [unrolled: 1-line block ×14, first 2 shown]
	s_waitcnt vmcnt(2)
	v_fma_f64 v[2:3], v[29:30], v[8:9], v[25:26]
	v_fma_f64 v[17:18], v[27:28], v[8:9], v[0:1]
	v_fma_f64 v[19:20], -v[29:30], v[8:9], v[25:26]
	v_fma_f64 v[8:9], v[27:28], v[8:9], -v[0:1]
	v_fma_f64 v[0:1], -v[27:28], v[6:7], v[2:3]
	v_fma_f64 v[2:3], v[29:30], v[6:7], v[17:18]
	v_fma_f64 v[17:18], v[27:28], v[6:7], v[19:20]
	v_fma_f64 v[19:20], v[29:30], v[6:7], v[8:9]
	ds_write_b128 v107, v[0:3] offset:80
	ds_write_b128 v12, v[17:20] offset:2320
	ds_read_b128 v[0:3], v107 offset:160
	ds_read_b128 v[6:9], v12 offset:2240
	global_load_dwordx4 v[17:20], v[4:5], off offset:320
	s_waitcnt lgkmcnt(0)
	v_add_f64 v[25:26], v[0:1], v[6:7]
	v_add_f64 v[27:28], v[8:9], v[2:3]
	v_add_f64 v[29:30], v[0:1], -v[6:7]
	v_add_f64 v[0:1], v[2:3], -v[8:9]
	s_waitcnt vmcnt(2)
	v_fma_f64 v[2:3], v[29:30], v[15:16], v[25:26]
	v_fma_f64 v[6:7], v[27:28], v[15:16], v[0:1]
	v_fma_f64 v[8:9], -v[29:30], v[15:16], v[25:26]
	v_fma_f64 v[15:16], v[27:28], v[15:16], -v[0:1]
	v_fma_f64 v[0:1], -v[27:28], v[13:14], v[2:3]
	v_fma_f64 v[2:3], v[29:30], v[13:14], v[6:7]
	v_fma_f64 v[6:7], v[27:28], v[13:14], v[8:9]
	v_fma_f64 v[8:9], v[29:30], v[13:14], v[15:16]
	ds_write_b128 v107, v[0:3] offset:160
	ds_write_b128 v12, v[6:9] offset:2240
	ds_read_b128 v[0:3], v107 offset:240
	ds_read_b128 v[6:9], v12 offset:2160
	global_load_dwordx4 v[13:16], v[4:5], off offset:400
	s_waitcnt lgkmcnt(0)
	v_add_f64 v[25:26], v[0:1], v[6:7]
	v_add_f64 v[27:28], v[8:9], v[2:3]
	v_add_f64 v[29:30], v[0:1], -v[6:7]
	v_add_f64 v[0:1], v[2:3], -v[8:9]
	;; [unrolled: 19-line block ×11, first 2 shown]
	s_waitcnt vmcnt(2)
	v_fma_f64 v[8:9], v[27:28], v[23:24], v[4:5]
	v_fma_f64 v[13:14], v[25:26], v[23:24], v[6:7]
	v_fma_f64 v[15:16], -v[27:28], v[23:24], v[4:5]
	v_fma_f64 v[23:24], v[25:26], v[23:24], -v[6:7]
	v_fma_f64 v[4:5], -v[25:26], v[21:22], v[8:9]
	v_fma_f64 v[6:7], v[27:28], v[21:22], v[13:14]
	v_fma_f64 v[13:14], v[25:26], v[21:22], v[15:16]
	;; [unrolled: 1-line block ×3, first 2 shown]
	ds_write_b128 v107, v[4:7] offset:960
	ds_write_b128 v12, v[13:16] offset:1440
	ds_read_b128 v[4:7], v107 offset:1040
	ds_read_b128 v[13:16], v12 offset:1360
	s_waitcnt lgkmcnt(0)
	v_add_f64 v[8:9], v[4:5], v[13:14]
	v_add_f64 v[21:22], v[15:16], v[6:7]
	v_add_f64 v[23:24], v[4:5], -v[13:14]
	v_add_f64 v[4:5], v[6:7], -v[15:16]
	s_waitcnt vmcnt(1)
	v_fma_f64 v[6:7], v[23:24], v[19:20], v[8:9]
	v_fma_f64 v[13:14], v[21:22], v[19:20], v[4:5]
	v_fma_f64 v[8:9], -v[23:24], v[19:20], v[8:9]
	v_fma_f64 v[15:16], v[21:22], v[19:20], -v[4:5]
	v_fma_f64 v[4:5], -v[21:22], v[17:18], v[6:7]
	v_fma_f64 v[6:7], v[23:24], v[17:18], v[13:14]
	v_fma_f64 v[13:14], v[21:22], v[17:18], v[8:9]
	;; [unrolled: 1-line block ×3, first 2 shown]
	ds_write_b128 v107, v[4:7] offset:1040
	ds_write_b128 v12, v[13:16] offset:1360
	ds_read_b128 v[13:16], v107 offset:1120
	ds_read_b128 v[17:20], v12 offset:1280
	s_waitcnt lgkmcnt(0)
	v_add_f64 v[8:9], v[13:14], v[17:18]
	v_add_f64 v[4:5], v[19:20], v[15:16]
	v_add_f64 v[6:7], v[13:14], -v[17:18]
	v_add_f64 v[10:11], v[15:16], -v[19:20]
	s_waitcnt vmcnt(0)
	v_fma_f64 v[13:14], v[6:7], v[2:3], v[8:9]
	v_fma_f64 v[15:16], v[4:5], v[2:3], v[10:11]
	v_fma_f64 v[17:18], -v[6:7], v[2:3], v[8:9]
	v_fma_f64 v[19:20], v[4:5], v[2:3], -v[10:11]
	v_fma_f64 v[8:9], -v[4:5], v[0:1], v[13:14]
	v_fma_f64 v[10:11], v[6:7], v[0:1], v[15:16]
	v_fma_f64 v[2:3], v[4:5], v[0:1], v[17:18]
	;; [unrolled: 1-line block ×3, first 2 shown]
	ds_write_b128 v107, v[8:11] offset:1120
	ds_write_b128 v12, v[2:5] offset:1280
	s_waitcnt lgkmcnt(0)
	; wave barrier
	s_waitcnt lgkmcnt(0)
	s_waitcnt lgkmcnt(0)
	; wave barrier
	s_waitcnt lgkmcnt(0)
	ds_read_b128 v[8:11], v37 offset:960
	ds_read_b128 v[12:15], v37 offset:1040
	;; [unrolled: 1-line block ×4, first 2 shown]
	ds_read_b128 v[24:27], v107
	ds_read_b128 v[28:31], v37 offset:80
	ds_read_b128 v[32:35], v37 offset:480
	;; [unrolled: 1-line block ×25, first 2 shown]
	s_waitcnt lgkmcnt(14)
	v_add_f64 v[104:105], v[8:9], v[16:17]
	v_add_f64 v[129:130], v[32:33], v[44:45]
	;; [unrolled: 1-line block ×7, first 2 shown]
	s_waitcnt lgkmcnt(11)
	v_add_f64 v[161:162], v[72:73], v[80:81]
	v_add_f64 v[163:164], v[74:75], v[82:83]
	;; [unrolled: 1-line block ×7, first 2 shown]
	s_waitcnt lgkmcnt(7)
	v_add_f64 v[223:224], v[88:89], v[92:93]
	v_add_f64 v[225:226], v[90:91], v[94:95]
	s_waitcnt lgkmcnt(3)
	v_add_f64 v[227:228], v[100:101], v[113:114]
	v_add_f64 v[235:236], v[102:103], v[115:116]
	v_add_f64 v[239:240], v[94:95], -v[102:103]
	v_add_f64 v[241:242], v[102:103], -v[94:95]
	s_waitcnt lgkmcnt(1)
	v_add_f64 v[243:244], v[94:95], -v[123:124]
	v_add_f64 v[94:95], v[94:95], v[123:124]
	v_add_f64 v[139:140], v[34:35], -v[46:47]
	v_add_f64 v[141:142], v[32:33], -v[8:9]
	;; [unrolled: 1-line block ×19, first 2 shown]
	v_add_f64 v[187:188], v[12:13], v[20:21]
	v_add_f64 v[189:190], v[40:41], v[48:49]
	;; [unrolled: 1-line block ×4, first 2 shown]
	v_add_f64 v[195:196], v[82:83], -v[62:63]
	v_add_f64 v[203:204], v[42:43], -v[50:51]
	;; [unrolled: 1-line block ×13, first 2 shown]
	v_add_f64 v[245:246], v[92:93], v[121:122]
	v_add_f64 v[92:93], v[92:93], -v[121:122]
	v_fma_f64 v[104:105], v[104:105], -0.5, v[24:25]
	v_fma_f64 v[24:25], v[129:130], -0.5, v[24:25]
	;; [unrolled: 1-line block ×4, first 2 shown]
	v_add_f64 v[8:9], v[135:136], v[8:9]
	v_add_f64 v[10:11], v[137:138], v[10:11]
	v_fma_f64 v[133:134], v[159:160], -0.5, v[68:69]
	v_fma_f64 v[68:69], v[161:162], -0.5, v[68:69]
	;; [unrolled: 1-line block ×4, first 2 shown]
	v_add_f64 v[52:53], v[165:166], v[52:53]
	v_add_f64 v[54:55], v[167:168], v[54:55]
	;; [unrolled: 1-line block ×6, first 2 shown]
	v_fma_f64 v[161:162], v[227:228], -0.5, v[88:89]
	v_fma_f64 v[163:164], v[235:236], -0.5, v[90:91]
	;; [unrolled: 1-line block ×3, first 2 shown]
	v_add_f64 v[155:156], v[46:47], -v[18:19]
	v_add_f64 v[157:158], v[18:19], -v[46:47]
	;; [unrolled: 1-line block ×12, first 2 shown]
	v_fma_f64 v[137:138], v[187:188], -0.5, v[28:29]
	v_fma_f64 v[28:29], v[189:190], -0.5, v[28:29]
	;; [unrolled: 1-line block ×5, first 2 shown]
	v_add_f64 v[94:95], v[141:142], v[151:152]
	v_add_f64 v[151:152], v[175:176], v[195:196]
	;; [unrolled: 1-line block ×12, first 2 shown]
	v_fma_f64 v[52:53], v[147:148], s[12:13], v[24:25]
	v_fma_f64 v[24:25], v[147:148], s[10:11], v[24:25]
	;; [unrolled: 1-line block ×18, first 2 shown]
	v_add_f64 v[141:142], v[145:146], v[155:156]
	v_add_f64 v[145:146], v[171:172], v[183:184]
	;; [unrolled: 1-line block ×6, first 2 shown]
	v_fma_f64 v[68:69], v[179:180], s[10:11], v[68:69]
	v_fma_f64 v[133:134], v[169:170], s[12:13], v[133:134]
	;; [unrolled: 1-line block ×10, first 2 shown]
	v_add_f64 v[44:45], v[8:9], v[44:45]
	v_add_f64 v[46:47], v[10:11], v[46:47]
	;; [unrolled: 1-line block ×8, first 2 shown]
	v_fma_f64 v[52:53], v[139:140], s[4:5], v[52:53]
	v_fma_f64 v[24:25], v[139:140], s[6:7], v[24:25]
	;; [unrolled: 1-line block ×14, first 2 shown]
	v_add_f64 v[155:156], v[205:206], v[215:216]
	v_add_f64 v[157:158], v[40:41], v[219:220]
	;; [unrolled: 1-line block ×6, first 2 shown]
	v_fma_f64 v[68:69], v[169:170], s[6:7], v[68:69]
	v_fma_f64 v[54:55], v[147:148], s[4:5], v[54:55]
	;; [unrolled: 1-line block ×13, first 2 shown]
	v_add_f64 v[8:9], v[44:45], v[16:17]
	v_add_f64 v[10:11], v[46:47], v[18:19]
	v_add_f64 v[12:13], v[44:45], -v[16:17]
	v_add_f64 v[14:15], v[46:47], -v[18:19]
	v_add_f64 v[16:17], v[48:49], v[20:21]
	v_add_f64 v[18:19], v[50:51], v[22:23]
	v_add_f64 v[20:21], v[48:49], -v[20:21]
	v_add_f64 v[22:23], v[50:51], -v[22:23]
	v_fma_f64 v[44:45], v[143:144], s[14:15], v[52:53]
	v_fma_f64 v[48:49], v[143:144], s[14:15], v[24:25]
	;; [unrolled: 1-line block ×26, first 2 shown]
	v_mul_f64 v[28:29], v[52:53], s[4:5]
	v_mul_f64 v[30:31], v[72:73], s[6:7]
	;; [unrolled: 1-line block ×10, first 2 shown]
	v_fma_f64 v[28:29], v[72:73], s[18:19], v[28:29]
	v_fma_f64 v[30:31], v[52:53], s[18:19], v[30:31]
	;; [unrolled: 1-line block ×9, first 2 shown]
	v_mul_f64 v[135:136], v[94:95], s[10:11]
	v_mul_f64 v[94:95], v[94:95], s[14:15]
	v_fma_f64 v[52:53], v[32:33], s[12:13], v[24:25]
	v_fma_f64 v[139:140], v[34:35], s[12:13], v[26:27]
	v_add_f64 v[24:25], v[54:55], v[28:29]
	v_add_f64 v[26:27], v[68:69], v[30:31]
	v_add_f64 v[28:29], v[54:55], -v[28:29]
	v_add_f64 v[30:31], v[68:69], -v[30:31]
	v_add_f64 v[32:33], v[44:45], v[40:41]
	v_add_f64 v[40:41], v[44:45], -v[40:41]
	v_add_f64 v[44:45], v[48:49], v[72:73]
	;; [unrolled: 2-line block ×4, first 2 shown]
	v_add_f64 v[70:71], v[115:116], v[80:81]
	v_add_f64 v[72:73], v[92:93], -v[74:75]
	v_add_f64 v[74:75], v[115:116], -v[80:81]
	v_fma_f64 v[80:81], v[243:244], s[12:13], v[161:162]
	v_fma_f64 v[82:83], v[237:238], s[4:5], v[163:164]
	v_add_f64 v[34:35], v[46:47], v[52:53]
	v_add_f64 v[42:43], v[46:47], -v[52:53]
	v_add_f64 v[52:53], v[60:61], v[123:124]
	v_add_f64 v[60:61], v[60:61], -v[123:124]
	v_fma_f64 v[92:93], v[121:122], s[14:15], v[135:136]
	v_fma_f64 v[88:89], v[243:244], s[6:7], v[88:89]
	;; [unrolled: 1-line block ×8, first 2 shown]
	v_add_f64 v[80:81], v[100:101], v[92:93]
	v_fma_f64 v[88:89], v[171:172], s[14:15], v[88:89]
	v_mul_f64 v[131:132], v[90:91], s[10:11]
	v_mul_f64 v[90:91], v[90:91], s[16:17]
	v_fma_f64 v[115:116], v[211:212], s[6:7], v[115:116]
	v_fma_f64 v[121:122], v[213:214], s[4:5], v[121:122]
	;; [unrolled: 1-line block ×3, first 2 shown]
	v_mul_f64 v[133:134], v[129:130], s[4:5]
	v_mul_f64 v[129:130], v[129:130], s[0:1]
	v_add_f64 v[82:83], v[104:105], v[94:95]
	v_fma_f64 v[131:132], v[88:89], s[16:17], v[131:132]
	v_fma_f64 v[135:136], v[88:89], s[12:13], v[90:91]
	v_add_f64 v[90:91], v[104:105], -v[94:95]
	v_fma_f64 v[104:105], v[155:156], s[14:15], v[115:116]
	v_fma_f64 v[137:138], v[157:158], s[14:15], v[121:122]
	;; [unrolled: 1-line block ×4, first 2 shown]
	v_add_f64 v[129:130], v[0:1], v[76:77]
	v_add_f64 v[133:134], v[2:3], v[78:79]
	v_add_f64 v[88:89], v[100:101], -v[92:93]
	v_add_f64 v[92:93], v[102:103], v[131:132]
	v_add_f64 v[94:95], v[113:114], v[135:136]
	v_add_f64 v[100:101], v[102:103], -v[131:132]
	v_add_f64 v[102:103], v[113:114], -v[135:136]
	v_add_f64 v[113:114], v[104:105], v[121:122]
	v_add_f64 v[121:122], v[104:105], -v[121:122]
	v_add_f64 v[104:105], v[129:130], v[56:57]
	v_add_f64 v[129:130], v[133:134], v[58:59]
	;; [unrolled: 1-line block ×3, first 2 shown]
	v_add_f64 v[50:51], v[50:51], -v[139:140]
	v_add_f64 v[115:116], v[137:138], v[123:124]
	v_add_f64 v[123:124], v[137:138], -v[123:124]
	v_add_f64 v[131:132], v[56:57], v[64:65]
	v_add_f64 v[133:134], v[58:59], -v[66:67]
	v_add_f64 v[135:136], v[76:77], -v[56:57]
	;; [unrolled: 1-line block ×3, first 2 shown]
	v_add_f64 v[139:140], v[58:59], v[66:67]
	v_add_f64 v[141:142], v[56:57], -v[64:65]
	v_add_f64 v[56:57], v[78:79], -v[58:59]
	;; [unrolled: 1-line block ×4, first 2 shown]
	v_add_f64 v[145:146], v[76:77], v[84:85]
	v_add_f64 v[147:148], v[76:77], -v[84:85]
	v_add_f64 v[76:77], v[78:79], v[86:87]
	v_add_f64 v[78:79], v[104:105], v[64:65]
	v_add_f64 v[104:105], v[129:130], v[66:67]
	v_add_f64 v[129:130], v[4:5], v[96:97]
	v_add_f64 v[149:150], v[6:7], v[98:99]
	v_add_f64 v[151:152], v[84:85], -v[64:65]
	v_add_f64 v[64:65], v[64:65], -v[84:85]
	;; [unrolled: 1-line block ×4, first 2 shown]
	v_add_f64 v[78:79], v[78:79], v[84:85]
	v_add_f64 v[84:85], v[104:105], v[86:87]
	;; [unrolled: 1-line block ×6, first 2 shown]
	v_add_f64 v[149:150], v[111:112], -v[119:120]
	v_add_f64 v[161:162], v[98:99], -v[111:112]
	;; [unrolled: 1-line block ×3, first 2 shown]
	s_waitcnt lgkmcnt(0)
	v_add_f64 v[163:164], v[98:99], -v[127:128]
	v_add_f64 v[165:166], v[96:97], -v[125:126]
	v_add_f64 v[98:99], v[98:99], v[127:128]
	v_fma_f64 v[155:156], v[155:156], -0.5, v[6:7]
	v_add_f64 v[86:87], v[86:87], v[117:118]
	v_fma_f64 v[129:130], v[129:130], -0.5, v[4:5]
	v_add_f64 v[157:158], v[96:97], -v[109:110]
	v_add_f64 v[159:160], v[109:110], -v[96:97]
	;; [unrolled: 1-line block ×3, first 2 shown]
	v_add_f64 v[96:97], v[96:97], v[125:126]
	v_add_f64 v[104:105], v[104:105], v[119:120]
	v_add_f64 v[167:168], v[125:126], -v[117:118]
	v_add_f64 v[169:170], v[127:128], -v[119:120]
	v_fma_f64 v[171:172], v[165:166], s[12:13], v[155:156]
	v_add_f64 v[117:118], v[117:118], -v[125:126]
	v_add_f64 v[86:87], v[86:87], v[125:126]
	v_fma_f64 v[125:126], v[163:164], s[10:11], v[129:130]
	v_fma_f64 v[98:99], v[98:99], -0.5, v[6:7]
	v_add_f64 v[119:120], v[119:120], -v[127:128]
	v_add_f64 v[104:105], v[104:105], v[127:128]
	v_fma_f64 v[127:128], v[131:132], -0.5, v[0:1]
	v_add_f64 v[131:132], v[161:162], v[169:170]
	v_fma_f64 v[161:162], v[109:110], s[6:7], v[171:172]
	v_fma_f64 v[145:146], v[145:146], -0.5, v[0:1]
	v_add_f64 v[157:158], v[157:158], v[167:168]
	v_fma_f64 v[6:7], v[149:150], s[4:5], v[125:126]
	v_fma_f64 v[125:126], v[76:77], -0.5, v[2:3]
	v_fma_f64 v[76:77], v[96:97], -0.5, v[4:5]
	v_add_f64 v[0:1], v[78:79], v[86:87]
	v_add_f64 v[4:5], v[78:79], -v[86:87]
	v_fma_f64 v[78:79], v[109:110], s[10:11], v[98:99]
	v_fma_f64 v[139:140], v[139:140], -0.5, v[2:3]
	v_fma_f64 v[96:97], v[131:132], s[14:15], v[161:162]
	v_fma_f64 v[6:7], v[157:158], s[14:15], v[6:7]
	;; [unrolled: 1-line block ×3, first 2 shown]
	v_add_f64 v[111:112], v[111:112], v[119:120]
	v_fma_f64 v[119:120], v[149:150], s[12:13], v[76:77]
	v_add_f64 v[135:136], v[135:136], v[151:152]
	v_fma_f64 v[78:79], v[165:166], s[6:7], v[78:79]
	v_fma_f64 v[161:162], v[147:148], s[12:13], v[139:140]
	v_mul_f64 v[151:152], v[96:97], s[4:5]
	v_mul_f64 v[167:168], v[6:7], s[6:7]
	v_fma_f64 v[86:87], v[133:134], s[4:5], v[86:87]
	v_add_f64 v[153:154], v[56:57], v[153:154]
	v_add_f64 v[117:118], v[159:160], v[117:118]
	v_fma_f64 v[56:57], v[163:164], s[4:5], v[119:120]
	v_fma_f64 v[78:79], v[111:112], s[14:15], v[78:79]
	v_add_f64 v[137:138], v[137:138], v[64:65]
	v_fma_f64 v[151:152], v[6:7], s[18:19], v[151:152]
	v_fma_f64 v[6:7], v[141:142], s[6:7], v[161:162]
	;; [unrolled: 1-line block ×4, first 2 shown]
	v_add_f64 v[169:170], v[58:59], v[66:67]
	v_fma_f64 v[64:65], v[117:118], s[14:15], v[56:57]
	v_mul_f64 v[167:168], v[78:79], s[10:11]
	v_mul_f64 v[66:67], v[78:79], s[14:15]
	v_add_f64 v[2:3], v[84:85], v[104:105]
	v_fma_f64 v[161:162], v[153:154], s[14:15], v[6:7]
	v_add_f64 v[6:7], v[84:85], -v[104:105]
	v_add_f64 v[56:57], v[86:87], v[151:152]
	v_fma_f64 v[98:99], v[109:110], s[12:13], v[98:99]
	v_fma_f64 v[129:130], v[163:164], s[12:13], v[129:130]
	;; [unrolled: 1-line block ×4, first 2 shown]
	v_add_f64 v[64:65], v[86:87], -v[151:152]
	v_fma_f64 v[86:87], v[165:166], s[10:11], v[155:156]
	v_add_f64 v[58:59], v[161:162], v[96:97]
	v_add_f64 v[66:67], v[161:162], -v[96:97]
	v_fma_f64 v[96:97], v[149:150], s[10:11], v[76:77]
	v_fma_f64 v[98:99], v[165:166], s[4:5], v[98:99]
	;; [unrolled: 1-line block ×18, first 2 shown]
	v_mul_f64 v[117:118], v[98:99], s[10:11]
	v_mul_f64 v[98:99], v[98:99], s[16:17]
	v_fma_f64 v[125:126], v[133:134], s[6:7], v[125:126]
	v_fma_f64 v[127:128], v[141:142], s[4:5], v[127:128]
	;; [unrolled: 1-line block ×3, first 2 shown]
	v_mul_f64 v[131:132], v[86:87], s[4:5]
	v_mul_f64 v[86:87], v[86:87], s[0:1]
	v_fma_f64 v[119:120], v[169:170], s[14:15], v[119:120]
	v_fma_f64 v[159:160], v[137:138], s[14:15], v[78:79]
	;; [unrolled: 1-line block ×10, first 2 shown]
	v_add_f64 v[78:79], v[119:120], v[104:105]
	v_add_f64 v[86:87], v[119:120], -v[104:105]
	v_mul_u32_u24_e32 v104, 10, v36
	v_lshlrev_b32_e32 v104, 4, v104
	v_add3_u32 v104, 0, v104, v108
	v_add_f64 v[76:77], v[159:160], v[84:85]
	v_add_f64 v[84:85], v[159:160], -v[84:85]
	v_add_f64 v[96:97], v[111:112], v[109:110]
	v_add_f64 v[98:99], v[133:134], v[117:118]
	v_add_f64 v[109:110], v[111:112], -v[109:110]
	v_add_f64 v[111:112], v[133:134], -v[117:118]
	v_add_f64 v[117:118], v[125:126], v[131:132]
	v_add_f64 v[119:120], v[127:128], v[129:130]
	v_add_f64 v[125:126], v[125:126], -v[131:132]
	v_add_f64 v[127:128], v[127:128], -v[129:130]
	s_waitcnt lgkmcnt(0)
	; wave barrier
	ds_write_b128 v104, v[8:11]
	ds_write_b128 v104, v[24:27] offset:16
	ds_write_b128 v104, v[32:35] offset:32
	;; [unrolled: 1-line block ×29, first 2 shown]
	v_lshlrev_b32_e32 v40, 2, v36
	v_mov_b32_e32 v41, 0
	v_lshlrev_b64 v[0:1], 4, v[40:41]
	v_mov_b32_e32 v2, s9
	v_add_co_u32_e64 v8, s[0:1], s8, v0
	v_addc_co_u32_e64 v9, s[0:1], v2, v1, s[0:1]
	s_waitcnt lgkmcnt(0)
	; wave barrier
	s_waitcnt lgkmcnt(0)
	global_load_dwordx4 v[0:3], v[8:9], off
	global_load_dwordx4 v[4:7], v[8:9], off offset:16
	global_load_dwordx4 v[14:17], v[8:9], off offset:32
	;; [unrolled: 1-line block ×3, first 2 shown]
	v_add_u32_e32 v110, 5, v36
	v_lshlrev_b32_e32 v40, 2, v110
	v_lshlrev_b64 v[8:9], 4, v[40:41]
	v_mov_b32_e32 v10, s9
	v_add_co_u32_e64 v34, s[0:1], s8, v8
	v_addc_co_u32_e64 v35, s[0:1], v10, v9, s[0:1]
	global_load_dwordx4 v[22:25], v[34:35], off
	global_load_dwordx4 v[26:29], v[34:35], off offset:16
	ds_read_b128 v[10:13], v37 offset:480
	ds_read_b128 v[30:33], v37 offset:560
	global_load_dwordx4 v[42:45], v[34:35], off offset:32
	ds_read_b128 v[46:49], v37 offset:640
	s_movk_i32 s0, 0xcd
	v_add_u32_e32 v109, 20, v36
	v_mul_lo_u16_sdwa v40, v109, s0 dst_sel:DWORD dst_unused:UNUSED_PAD src0_sel:BYTE_0 src1_sel:DWORD
	v_lshrrev_b16_e32 v40, 11, v40
	v_mul_lo_u16_e32 v40, 10, v40
	v_sub_u16_e32 v40, v109, v40
	v_mov_b32_e32 v62, 6
	v_lshlrev_b32_sdwa v63, v62, v40 dst_sel:DWORD dst_unused:UNUSED_PAD src0_sel:DWORD src1_sel:BYTE_0
	v_add_u32_e32 v111, 25, v36
	s_waitcnt vmcnt(6) lgkmcnt(2)
	v_mul_f64 v[8:9], v[12:13], v[2:3]
	v_mul_f64 v[50:51], v[10:11], v[2:3]
	v_fma_f64 v[10:11], v[10:11], v[0:1], v[8:9]
	v_fma_f64 v[8:9], v[12:13], v[0:1], -v[50:51]
	ds_read_b128 v[50:53], v37 offset:960
	ds_read_b128 v[54:57], v37 offset:720
	global_load_dwordx4 v[66:69], v[34:35], off offset:48
	s_waitcnt lgkmcnt(2)
	v_mul_f64 v[12:13], v[48:49], v[2:3]
	v_mul_f64 v[2:3], v[46:47], v[2:3]
	global_load_dwordx4 v[74:77], v63, s[8:9]
	s_waitcnt vmcnt(7) lgkmcnt(1)
	v_mul_f64 v[58:59], v[50:51], v[6:7]
	v_mul_f64 v[34:35], v[52:53], v[6:7]
	ds_read_b128 v[70:73], v37 offset:1040
	ds_read_b128 v[78:81], v37 offset:1120
	v_fma_f64 v[64:65], v[46:47], v[0:1], v[12:13]
	v_fma_f64 v[60:61], v[48:49], v[0:1], -v[2:3]
	global_load_dwordx4 v[0:3], v63, s[8:9] offset:16
	v_fma_f64 v[137:138], v[52:53], v[4:5], -v[58:59]
	v_mul_lo_u16_sdwa v58, v111, s0 dst_sel:DWORD dst_unused:UNUSED_PAD src0_sel:BYTE_0 src1_sel:DWORD
	v_fma_f64 v[12:13], v[50:51], v[4:5], v[34:35]
	ds_read_b128 v[46:49], v37 offset:1200
	ds_read_b128 v[50:53], v37 offset:1440
	;; [unrolled: 1-line block ×3, first 2 shown]
	global_load_dwordx4 v[113:116], v63, s[8:9] offset:32
	global_load_dwordx4 v[117:120], v63, s[8:9] offset:48
	v_lshrrev_b16_e32 v58, 11, v58
	v_mul_lo_u16_e32 v58, 10, v58
	v_sub_u16_e32 v112, v111, v58
	v_lshlrev_b32_sdwa v100, v62, v112 dst_sel:DWORD dst_unused:UNUSED_PAD src0_sel:DWORD src1_sel:BYTE_0
	global_load_dwordx4 v[121:124], v100, s[8:9]
	global_load_dwordx4 v[125:128], v100, s[8:9] offset:16
	global_load_dwordx4 v[129:132], v100, s[8:9] offset:32
	;; [unrolled: 1-line block ×3, first 2 shown]
	s_waitcnt lgkmcnt(3)
	v_mul_f64 v[34:35], v[80:81], v[6:7]
	v_mul_f64 v[6:7], v[78:79], v[6:7]
	s_waitcnt vmcnt(13) lgkmcnt(1)
	v_mul_f64 v[58:59], v[52:53], v[16:17]
	v_mul_f64 v[62:63], v[50:51], v[16:17]
	ds_read_b128 v[82:85], v37 offset:1600
	ds_read_b128 v[86:89], v37 offset:2080
	v_fma_f64 v[92:93], v[78:79], v[4:5], v[34:35]
	v_fma_f64 v[90:91], v[80:81], v[4:5], -v[6:7]
	ds_read_b128 v[78:81], v37 offset:1920
	ds_read_b128 v[4:7], v37 offset:1680
	s_waitcnt lgkmcnt(3)
	v_mul_f64 v[34:35], v[84:85], v[16:17]
	v_mul_f64 v[16:17], v[82:83], v[16:17]
	v_fma_f64 v[139:140], v[50:51], v[14:15], v[58:59]
	v_fma_f64 v[141:142], v[52:53], v[14:15], -v[62:63]
	ds_read_b128 v[50:53], v37 offset:2000
	s_waitcnt vmcnt(12) lgkmcnt(2)
	v_mul_f64 v[58:59], v[80:81], v[20:21]
	v_fma_f64 v[98:99], v[82:83], v[14:15], v[34:35]
	v_fma_f64 v[100:101], v[84:85], v[14:15], -v[16:17]
	v_mul_f64 v[34:35], v[78:79], v[20:21]
	ds_read_b128 v[14:17], v37 offset:2160
	v_mul_f64 v[62:63], v[88:89], v[20:21]
	v_mul_f64 v[20:21], v[86:87], v[20:21]
	s_waitcnt vmcnt(11)
	v_mul_f64 v[82:83], v[32:33], v[24:25]
	v_fma_f64 v[143:144], v[78:79], v[18:19], v[58:59]
	v_mul_f64 v[58:59], v[30:31], v[24:25]
	v_mul_f64 v[78:79], v[56:57], v[24:25]
	;; [unrolled: 1-line block ×3, first 2 shown]
	v_fma_f64 v[34:35], v[80:81], v[18:19], -v[34:35]
	v_fma_f64 v[104:105], v[86:87], v[18:19], v[62:63]
	v_fma_f64 v[102:103], v[88:89], v[18:19], -v[20:21]
	s_waitcnt vmcnt(10)
	v_mul_f64 v[20:21], v[70:71], v[28:29]
	v_fma_f64 v[145:146], v[30:31], v[22:23], v[82:83]
	v_fma_f64 v[147:148], v[32:33], v[22:23], -v[58:59]
	v_fma_f64 v[80:81], v[54:55], v[22:23], v[78:79]
	v_fma_f64 v[78:79], v[56:57], v[22:23], -v[24:25]
	v_mul_f64 v[22:23], v[48:49], v[28:29]
	v_mul_f64 v[18:19], v[72:73], v[28:29]
	;; [unrolled: 1-line block ×3, first 2 shown]
	s_waitcnt vmcnt(9)
	v_mul_f64 v[28:29], v[96:97], v[44:45]
	v_fma_f64 v[151:152], v[72:73], v[26:27], -v[20:21]
	s_waitcnt lgkmcnt(2)
	v_mul_f64 v[20:21], v[6:7], v[44:45]
	v_mul_f64 v[30:31], v[4:5], v[44:45]
	v_fma_f64 v[86:87], v[46:47], v[26:27], v[22:23]
	v_fma_f64 v[149:150], v[70:71], v[26:27], v[18:19]
	v_mul_f64 v[18:19], v[94:95], v[44:45]
	v_fma_f64 v[153:154], v[94:95], v[42:43], v[28:29]
	v_fma_f64 v[82:83], v[48:49], v[26:27], -v[24:25]
	v_fma_f64 v[88:89], v[4:5], v[42:43], v[20:21]
	v_fma_f64 v[84:85], v[6:7], v[42:43], -v[30:31]
	s_waitcnt vmcnt(8) lgkmcnt(1)
	v_mul_f64 v[22:23], v[52:53], v[68:69]
	ds_read_b128 v[4:7], v37 offset:800
	s_waitcnt lgkmcnt(1)
	v_mul_f64 v[28:29], v[16:17], v[68:69]
	v_mul_f64 v[30:31], v[14:15], v[68:69]
	;; [unrolled: 1-line block ×3, first 2 shown]
	v_fma_f64 v[155:156], v[96:97], v[42:43], -v[18:19]
	ds_read_b128 v[18:21], v37 offset:880
	s_waitcnt vmcnt(7) lgkmcnt(1)
	v_mul_f64 v[42:43], v[4:5], v[76:77]
	v_fma_f64 v[157:158], v[50:51], v[66:67], v[22:23]
	ds_read_b128 v[22:25], v37 offset:1280
	v_mul_f64 v[32:33], v[6:7], v[76:77]
	v_fma_f64 v[96:97], v[14:15], v[66:67], v[28:29]
	v_fma_f64 v[94:95], v[16:17], v[66:67], -v[30:31]
	ds_read_b128 v[14:17], v37 offset:1360
	s_waitcnt vmcnt(6) lgkmcnt(1)
	v_mul_f64 v[44:45], v[24:25], v[2:3]
	v_fma_f64 v[159:160], v[52:53], v[66:67], -v[26:27]
	ds_read_b128 v[26:29], v37 offset:1760
	v_fma_f64 v[58:59], v[6:7], v[74:75], -v[42:43]
	v_mul_f64 v[6:7], v[22:23], v[2:3]
	v_fma_f64 v[62:63], v[4:5], v[74:75], v[32:33]
	ds_read_b128 v[2:5], v37 offset:1840
	ds_read_b128 v[30:33], v37 offset:2240
	s_waitcnt vmcnt(5) lgkmcnt(2)
	v_mul_f64 v[42:43], v[28:29], v[115:116]
	v_fma_f64 v[70:71], v[22:23], v[0:1], v[44:45]
	v_mul_f64 v[22:23], v[26:27], v[115:116]
	ds_read_b128 v[54:57], v37 offset:2320
	s_waitcnt vmcnt(4) lgkmcnt(1)
	v_mul_f64 v[44:45], v[32:33], v[119:120]
	v_fma_f64 v[76:77], v[24:25], v[0:1], -v[6:7]
	v_mul_f64 v[0:1], v[30:31], v[119:120]
	s_waitcnt vmcnt(3)
	v_mul_f64 v[6:7], v[20:21], v[123:124]
	v_mul_f64 v[24:25], v[18:19], v[123:124]
	v_fma_f64 v[72:73], v[26:27], v[113:114], v[42:43]
	v_fma_f64 v[74:75], v[28:29], v[113:114], -v[22:23]
	s_waitcnt vmcnt(2)
	v_mul_f64 v[22:23], v[16:17], v[127:128]
	v_mul_f64 v[26:27], v[14:15], v[127:128]
	v_fma_f64 v[66:67], v[30:31], v[117:118], v[44:45]
	v_fma_f64 v[68:69], v[32:33], v[117:118], -v[0:1]
	v_fma_f64 v[44:45], v[18:19], v[121:122], v[6:7]
	s_waitcnt vmcnt(1)
	v_mul_f64 v[0:1], v[4:5], v[131:132]
	v_fma_f64 v[42:43], v[20:21], v[121:122], -v[24:25]
	v_mul_f64 v[6:7], v[2:3], v[131:132]
	v_add_f64 v[18:19], v[12:13], v[139:140]
	v_add_f64 v[20:21], v[137:138], v[141:142]
	v_fma_f64 v[46:47], v[14:15], v[125:126], v[22:23]
	v_fma_f64 v[48:49], v[16:17], v[125:126], -v[26:27]
	ds_read_b128 v[26:29], v37 offset:80
	ds_read_b128 v[14:17], v107
	v_fma_f64 v[50:51], v[2:3], v[129:130], v[0:1]
	s_waitcnt vmcnt(0) lgkmcnt(2)
	v_mul_f64 v[0:1], v[56:57], v[135:136]
	v_fma_f64 v[52:53], v[4:5], v[129:130], -v[6:7]
	v_mul_f64 v[4:5], v[54:55], v[135:136]
	s_waitcnt lgkmcnt(0)
	v_fma_f64 v[2:3], v[18:19], -0.5, v[14:15]
	v_add_f64 v[18:19], v[8:9], -v[34:35]
	v_fma_f64 v[6:7], v[20:21], -0.5, v[16:17]
	v_add_f64 v[20:21], v[10:11], -v[143:144]
	v_add_f64 v[22:23], v[143:144], -v[139:140]
	v_fma_f64 v[54:55], v[54:55], v[133:134], v[0:1]
	v_add_f64 v[0:1], v[10:11], -v[12:13]
	v_add_f64 v[24:25], v[8:9], -v[137:138]
	;; [unrolled: 1-line block ×3, first 2 shown]
	v_fma_f64 v[30:31], v[18:19], s[10:11], v[2:3]
	v_add_f64 v[113:114], v[34:35], -v[141:142]
	v_fma_f64 v[115:116], v[20:21], s[12:13], v[6:7]
	v_add_f64 v[117:118], v[12:13], -v[139:140]
	v_fma_f64 v[2:3], v[18:19], s[12:13], v[2:3]
	v_fma_f64 v[6:7], v[20:21], s[10:11], v[6:7]
	v_fma_f64 v[56:57], v[56:57], v[133:134], -v[4:5]
	v_add_f64 v[0:1], v[0:1], v[22:23]
	v_fma_f64 v[4:5], v[32:33], s[4:5], v[30:31]
	v_add_f64 v[22:23], v[24:25], v[113:114]
	v_add_f64 v[24:25], v[10:11], v[143:144]
	v_fma_f64 v[30:31], v[117:118], s[6:7], v[115:116]
	v_fma_f64 v[2:3], v[32:33], s[6:7], v[2:3]
	;; [unrolled: 1-line block ×3, first 2 shown]
	v_add_f64 v[115:116], v[8:9], v[34:35]
	v_add_f64 v[119:120], v[14:15], v[10:11]
	v_fma_f64 v[4:5], v[0:1], s[14:15], v[4:5]
	v_add_f64 v[121:122], v[16:17], v[8:9]
	v_fma_f64 v[14:15], v[24:25], -0.5, v[14:15]
	v_fma_f64 v[6:7], v[22:23], s[14:15], v[30:31]
	v_fma_f64 v[0:1], v[0:1], s[14:15], v[2:3]
	;; [unrolled: 1-line block ×3, first 2 shown]
	v_fma_f64 v[16:17], v[115:116], -0.5, v[16:17]
	v_add_f64 v[22:23], v[119:120], v[12:13]
	v_add_f64 v[10:11], v[12:13], -v[10:11]
	v_add_f64 v[12:13], v[121:122], v[137:138]
	v_fma_f64 v[24:25], v[32:33], s[12:13], v[14:15]
	v_add_f64 v[30:31], v[139:140], -v[143:144]
	v_add_f64 v[8:9], v[137:138], -v[8:9]
	;; [unrolled: 1-line block ×3, first 2 shown]
	v_fma_f64 v[115:116], v[117:118], s[10:11], v[16:17]
	v_fma_f64 v[14:15], v[32:33], s[10:11], v[14:15]
	v_add_f64 v[22:23], v[22:23], v[139:140]
	v_add_f64 v[12:13], v[12:13], v[141:142]
	v_fma_f64 v[32:33], v[117:118], s[12:13], v[16:17]
	v_add_f64 v[10:11], v[10:11], v[30:31]
	v_fma_f64 v[24:25], v[18:19], s[4:5], v[24:25]
	;; [unrolled: 2-line block ×3, first 2 shown]
	v_add_f64 v[113:114], v[149:150], v[153:154]
	v_add_f64 v[16:17], v[22:23], v[143:144]
	v_fma_f64 v[22:23], v[18:19], s[6:7], v[14:15]
	v_add_f64 v[115:116], v[151:152], v[155:156]
	v_add_f64 v[18:19], v[12:13], v[34:35]
	v_fma_f64 v[20:21], v[20:21], s[4:5], v[32:33]
	v_fma_f64 v[12:13], v[10:11], s[14:15], v[24:25]
	;; [unrolled: 1-line block ×3, first 2 shown]
	v_fma_f64 v[24:25], v[113:114], -0.5, v[26:27]
	v_add_f64 v[32:33], v[147:148], -v[159:160]
	v_fma_f64 v[8:9], v[10:11], s[14:15], v[22:23]
	v_fma_f64 v[22:23], v[115:116], -0.5, v[28:29]
	v_add_f64 v[34:35], v[145:146], -v[157:158]
	v_add_f64 v[113:114], v[145:146], -v[149:150]
	;; [unrolled: 1-line block ×5, first 2 shown]
	v_fma_f64 v[121:122], v[32:33], s[10:11], v[24:25]
	v_add_f64 v[123:124], v[151:152], -v[155:156]
	v_fma_f64 v[10:11], v[30:31], s[14:15], v[20:21]
	v_fma_f64 v[20:21], v[34:35], s[12:13], v[22:23]
	v_add_f64 v[30:31], v[149:150], -v[153:154]
	v_fma_f64 v[24:25], v[32:33], s[12:13], v[24:25]
	v_fma_f64 v[22:23], v[34:35], s[10:11], v[22:23]
	v_add_f64 v[113:114], v[113:114], v[115:116]
	v_add_f64 v[115:116], v[117:118], v[119:120]
	v_fma_f64 v[117:118], v[123:124], s[4:5], v[121:122]
	v_add_f64 v[119:120], v[26:27], v[145:146]
	v_add_f64 v[121:122], v[145:146], v[157:158]
	v_fma_f64 v[20:21], v[30:31], s[6:7], v[20:21]
	v_fma_f64 v[125:126], v[123:124], s[6:7], v[24:25]
	v_add_f64 v[127:128], v[147:148], v[159:160]
	v_fma_f64 v[22:23], v[30:31], s[4:5], v[22:23]
	v_add_f64 v[129:130], v[28:29], v[147:148]
	;; [unrolled: 2-line block ×3, first 2 shown]
	v_fma_f64 v[119:120], v[121:122], -0.5, v[26:27]
	v_fma_f64 v[26:27], v[115:116], s[14:15], v[20:21]
	v_fma_f64 v[20:21], v[113:114], s[14:15], v[125:126]
	v_fma_f64 v[113:114], v[127:128], -0.5, v[28:29]
	v_fma_f64 v[22:23], v[115:116], s[14:15], v[22:23]
	v_add_f64 v[28:29], v[129:130], v[151:152]
	v_add_f64 v[115:116], v[149:150], -v[145:146]
	v_add_f64 v[117:118], v[117:118], v[153:154]
	v_add_f64 v[125:126], v[153:154], -v[157:158]
	v_add_f64 v[127:128], v[151:152], -v[147:148]
	;; [unrolled: 1-line block ×3, first 2 shown]
	v_fma_f64 v[131:132], v[30:31], s[10:11], v[113:114]
	v_fma_f64 v[121:122], v[123:124], s[12:13], v[119:120]
	v_add_f64 v[133:134], v[28:29], v[155:156]
	v_fma_f64 v[119:120], v[123:124], s[10:11], v[119:120]
	v_add_f64 v[28:29], v[117:118], v[157:158]
	v_fma_f64 v[117:118], v[30:31], s[12:13], v[113:114]
	v_add_f64 v[123:124], v[115:116], v[125:126]
	v_add_f64 v[125:126], v[127:128], v[129:130]
	v_fma_f64 v[127:128], v[34:35], s[6:7], v[131:132]
	v_add_f64 v[129:130], v[92:93], v[98:99]
	ds_read_b128 v[113:116], v37 offset:160
	v_fma_f64 v[121:122], v[32:33], s[4:5], v[121:122]
	v_add_f64 v[30:31], v[133:134], v[159:160]
	v_fma_f64 v[131:132], v[32:33], s[6:7], v[119:120]
	v_add_f64 v[133:134], v[90:91], v[100:101]
	v_fma_f64 v[135:136], v[34:35], s[4:5], v[117:118]
	ds_read_b128 v[117:120], v37 offset:240
	v_fma_f64 v[34:35], v[125:126], s[14:15], v[127:128]
	s_waitcnt lgkmcnt(1)
	v_fma_f64 v[127:128], v[129:130], -0.5, v[113:114]
	v_add_f64 v[137:138], v[60:61], -v[102:103]
	v_fma_f64 v[32:33], v[123:124], s[14:15], v[121:122]
	v_fma_f64 v[121:122], v[123:124], s[14:15], v[131:132]
	v_fma_f64 v[129:130], v[133:134], -0.5, v[115:116]
	v_add_f64 v[133:134], v[64:65], -v[104:105]
	v_add_f64 v[131:132], v[64:65], -v[92:93]
	;; [unrolled: 1-line block ×5, first 2 shown]
	v_fma_f64 v[145:146], v[137:138], s[10:11], v[127:128]
	v_add_f64 v[147:148], v[90:91], -v[100:101]
	v_fma_f64 v[123:124], v[125:126], s[14:15], v[135:136]
	v_fma_f64 v[125:126], v[133:134], s[12:13], v[129:130]
	v_add_f64 v[135:136], v[92:93], -v[98:99]
	v_add_f64 v[131:132], v[131:132], v[139:140]
	v_add_f64 v[151:152], v[115:116], v[60:61]
	;; [unrolled: 1-line block ×4, first 2 shown]
	v_fma_f64 v[141:142], v[147:148], s[4:5], v[145:146]
	v_fma_f64 v[127:128], v[137:138], s[12:13], v[127:128]
	;; [unrolled: 1-line block ×3, first 2 shown]
	v_add_f64 v[145:146], v[64:65], v[104:105]
	v_fma_f64 v[149:150], v[135:136], s[6:7], v[125:126]
	v_add_f64 v[157:158], v[60:61], v[102:103]
	v_add_f64 v[64:65], v[92:93], -v[64:65]
	v_add_f64 v[60:61], v[90:91], -v[60:61]
	v_fma_f64 v[125:126], v[131:132], s[14:15], v[141:142]
	v_add_f64 v[141:142], v[143:144], v[92:93]
	v_add_f64 v[143:144], v[151:152], v[90:91]
	v_fma_f64 v[153:154], v[147:148], s[6:7], v[127:128]
	v_fma_f64 v[155:156], v[135:136], s[4:5], v[129:130]
	v_fma_f64 v[113:114], v[145:146], -0.5, v[113:114]
	v_fma_f64 v[115:116], v[157:158], -0.5, v[115:116]
	v_fma_f64 v[127:128], v[139:140], s[14:15], v[149:150]
	v_add_f64 v[145:146], v[86:87], -v[88:89]
	v_add_f64 v[92:93], v[141:142], v[98:99]
	v_add_f64 v[141:142], v[143:144], v[100:101]
	v_fma_f64 v[129:130], v[131:132], s[14:15], v[153:154]
	v_fma_f64 v[131:132], v[139:140], s[14:15], v[155:156]
	v_fma_f64 v[139:140], v[147:148], s[12:13], v[113:114]
	v_add_f64 v[98:99], v[98:99], -v[104:105]
	v_add_f64 v[100:101], v[100:101], -v[102:103]
	v_fma_f64 v[143:144], v[135:136], s[10:11], v[115:116]
	v_fma_f64 v[113:114], v[147:148], s[10:11], v[113:114]
	v_add_f64 v[90:91], v[92:93], v[104:105]
	v_fma_f64 v[104:105], v[135:136], s[12:13], v[115:116]
	v_add_f64 v[92:93], v[141:142], v[102:103]
	v_add_f64 v[102:103], v[86:87], v[88:89]
	;; [unrolled: 1-line block ×4, first 2 shown]
	v_fma_f64 v[98:99], v[137:138], s[4:5], v[139:140]
	v_add_f64 v[60:61], v[60:61], v[100:101]
	v_fma_f64 v[100:101], v[133:134], s[6:7], v[143:144]
	v_fma_f64 v[113:114], v[137:138], s[6:7], v[113:114]
	;; [unrolled: 1-line block ×3, first 2 shown]
	v_add_f64 v[133:134], v[80:81], -v[86:87]
	v_add_f64 v[135:136], v[96:97], -v[88:89]
	s_waitcnt lgkmcnt(0)
	v_fma_f64 v[137:138], v[102:103], -0.5, v[117:118]
	v_add_f64 v[139:140], v[78:79], -v[94:95]
	v_fma_f64 v[115:116], v[115:116], -0.5, v[119:120]
	v_add_f64 v[141:142], v[80:81], -v[96:97]
	v_fma_f64 v[98:99], v[64:65], s[14:15], v[98:99]
	v_fma_f64 v[100:101], v[60:61], s[14:15], v[100:101]
	;; [unrolled: 1-line block ×4, first 2 shown]
	v_add_f64 v[60:61], v[133:134], v[135:136]
	v_add_f64 v[64:65], v[78:79], -v[82:83]
	v_add_f64 v[113:114], v[94:95], -v[84:85]
	v_fma_f64 v[133:134], v[139:140], s[10:11], v[137:138]
	v_add_f64 v[143:144], v[82:83], -v[84:85]
	v_fma_f64 v[135:136], v[141:142], s[12:13], v[115:116]
	v_fma_f64 v[137:138], v[139:140], s[12:13], v[137:138]
	v_add_f64 v[147:148], v[117:118], v[80:81]
	v_add_f64 v[149:150], v[119:120], v[78:79]
	v_fma_f64 v[115:116], v[141:142], s[10:11], v[115:116]
	v_add_f64 v[64:65], v[64:65], v[113:114]
	v_add_f64 v[153:154], v[78:79], v[94:95]
	v_fma_f64 v[113:114], v[143:144], s[4:5], v[133:134]
	v_add_f64 v[133:134], v[80:81], v[96:97]
	v_fma_f64 v[135:136], v[145:146], s[6:7], v[135:136]
	v_fma_f64 v[137:138], v[143:144], s[6:7], v[137:138]
	v_add_f64 v[147:148], v[147:148], v[86:87]
	v_add_f64 v[149:150], v[149:150], v[82:83]
	v_fma_f64 v[151:152], v[145:146], s[4:5], v[115:116]
	v_add_f64 v[80:81], v[86:87], -v[80:81]
	v_fma_f64 v[113:114], v[60:61], s[14:15], v[113:114]
	v_fma_f64 v[117:118], v[133:134], -0.5, v[117:118]
	v_fma_f64 v[115:116], v[64:65], s[14:15], v[135:136]
	v_fma_f64 v[133:134], v[60:61], s[14:15], v[137:138]
	v_add_f64 v[60:61], v[147:148], v[88:89]
	v_add_f64 v[137:138], v[149:150], v[84:85]
	v_fma_f64 v[135:136], v[64:65], s[14:15], v[151:152]
	v_fma_f64 v[64:65], v[153:154], -0.5, v[119:120]
	v_add_f64 v[147:148], v[88:89], -v[96:97]
	v_fma_f64 v[119:120], v[143:144], s[12:13], v[117:118]
	v_fma_f64 v[117:118], v[143:144], s[10:11], v[117:118]
	v_add_f64 v[149:150], v[62:63], -v[70:71]
	v_add_f64 v[86:87], v[60:61], v[96:97]
	v_add_f64 v[88:89], v[137:138], v[94:95]
	v_add_f64 v[60:61], v[82:83], -v[78:79]
	v_add_f64 v[82:83], v[84:85], -v[94:95]
	v_fma_f64 v[84:85], v[145:146], s[10:11], v[64:65]
	v_add_f64 v[94:95], v[70:71], v[72:73]
	v_add_f64 v[137:138], v[80:81], v[147:148]
	ds_read_b128 v[78:81], v37 offset:320
	v_fma_f64 v[64:65], v[145:146], s[12:13], v[64:65]
	v_fma_f64 v[96:97], v[139:140], s[4:5], v[119:120]
	;; [unrolled: 1-line block ×3, first 2 shown]
	v_add_f64 v[60:61], v[60:61], v[82:83]
	v_fma_f64 v[139:140], v[141:142], s[6:7], v[84:85]
	ds_read_b128 v[82:85], v37 offset:400
	s_waitcnt lgkmcnt(1)
	v_fma_f64 v[143:144], v[94:95], -0.5, v[78:79]
	v_add_f64 v[145:146], v[58:59], -v[68:69]
	v_add_f64 v[119:120], v[76:77], v[74:75]
	v_fma_f64 v[64:65], v[141:142], s[4:5], v[64:65]
	v_add_f64 v[151:152], v[66:67], -v[72:73]
	v_add_f64 v[157:158], v[76:77], -v[74:75]
	;; [unrolled: 1-line block ×3, first 2 shown]
	v_fma_f64 v[94:95], v[137:138], s[14:15], v[96:97]
	v_fma_f64 v[96:97], v[60:61], s[14:15], v[139:140]
	;; [unrolled: 1-line block ×3, first 2 shown]
	v_fma_f64 v[141:142], v[119:120], -0.5, v[80:81]
	v_fma_f64 v[119:120], v[60:61], s[14:15], v[64:65]
	v_add_f64 v[60:61], v[149:150], v[151:152]
	v_add_f64 v[139:140], v[62:63], v[66:67]
	v_add_f64 v[153:154], v[58:59], -v[76:77]
	v_add_f64 v[159:160], v[68:69], -v[74:75]
	;; [unrolled: 1-line block ×3, first 2 shown]
	v_fma_f64 v[64:65], v[157:158], s[4:5], v[155:156]
	v_fma_f64 v[161:162], v[147:148], s[12:13], v[141:142]
	;; [unrolled: 1-line block ×3, first 2 shown]
	v_add_f64 v[155:156], v[78:79], v[62:63]
	v_add_f64 v[62:63], v[70:71], -v[62:63]
	s_waitcnt lgkmcnt(0)
	v_add_f64 v[149:150], v[153:154], v[159:160]
	v_add_f64 v[153:154], v[58:59], v[68:69]
	v_fma_f64 v[137:138], v[60:61], s[14:15], v[64:65]
	v_fma_f64 v[64:65], v[139:140], -0.5, v[78:79]
	v_add_f64 v[78:79], v[80:81], v[58:59]
	v_fma_f64 v[151:152], v[163:164], s[6:7], v[161:162]
	v_add_f64 v[58:59], v[76:77], -v[58:59]
	; wave barrier
	ds_write_b128 v37, v[16:19]
	ds_write_b128 v37, v[4:7] offset:160
	ds_write_b128 v37, v[12:15] offset:320
	;; [unrolled: 1-line block ×15, first 2 shown]
	v_add_f64 v[0:1], v[44:45], v[54:55]
	v_add_f64 v[2:3], v[42:43], v[56:57]
	v_fma_f64 v[143:144], v[145:146], s[12:13], v[143:144]
	v_add_f64 v[78:79], v[78:79], v[76:77]
	v_fma_f64 v[139:140], v[149:150], s[14:15], v[151:152]
	;; [unrolled: 2-line block ×3, first 2 shown]
	v_add_f64 v[76:77], v[74:75], -v[68:69]
	v_fma_f64 v[64:65], v[157:158], s[10:11], v[64:65]
	v_fma_f64 v[0:1], v[0:1], -0.5, v[82:83]
	v_add_f64 v[4:5], v[48:49], -v[52:53]
	v_add_f64 v[74:75], v[78:79], v[74:75]
	v_add_f64 v[8:9], v[46:47], -v[50:51]
	v_add_f64 v[10:11], v[50:51], -v[54:55]
	v_fma_f64 v[70:71], v[145:146], s[4:5], v[70:71]
	v_add_f64 v[12:13], v[48:49], -v[42:43]
	v_fma_f64 v[145:146], v[145:146], s[6:7], v[64:65]
	v_add_f64 v[14:15], v[42:43], -v[56:57]
	v_fma_f64 v[16:17], v[4:5], s[12:13], v[0:1]
	v_add_f64 v[64:65], v[74:75], v[68:69]
	v_mov_b32_e32 v74, 4
	v_lshlrev_b32_sdwa v6, v74, v40 dst_sel:DWORD dst_unused:UNUSED_PAD src0_sel:DWORD src1_sel:BYTE_0
	v_add3_u32 v40, 0, v6, v108
	v_fma_f64 v[6:7], v[2:3], -0.5, v[84:85]
	v_add_f64 v[2:3], v[46:47], -v[44:45]
	v_add_f64 v[18:19], v[52:53], -v[56:57]
	;; [unrolled: 1-line block ×3, first 2 shown]
	v_add_f64 v[24:25], v[48:49], v[52:53]
	v_fma_f64 v[80:81], v[153:154], -0.5, v[80:81]
	v_add_f64 v[26:27], v[82:83], v[44:45]
	v_add_f64 v[28:29], v[84:85], v[42:43]
	v_fma_f64 v[22:23], v[8:9], s[10:11], v[6:7]
	v_add_f64 v[10:11], v[2:3], v[10:11]
	v_fma_f64 v[2:3], v[14:15], s[4:5], v[16:17]
	v_add_f64 v[16:17], v[46:47], v[50:51]
	v_add_f64 v[18:19], v[12:13], v[18:19]
	v_fma_f64 v[141:142], v[147:148], s[10:11], v[141:142]
	v_add_f64 v[153:154], v[72:73], -v[66:67]
	v_fma_f64 v[155:156], v[163:164], s[10:11], v[80:81]
	v_fma_f64 v[12:13], v[20:21], s[6:7], v[22:23]
	;; [unrolled: 1-line block ×4, first 2 shown]
	v_fma_f64 v[16:17], v[16:17], -0.5, v[82:83]
	v_fma_f64 v[80:81], v[163:164], s[12:13], v[80:81]
	v_add_f64 v[28:29], v[28:29], v[48:49]
	v_add_f64 v[32:33], v[54:55], -v[50:51]
	v_add_f64 v[34:35], v[42:43], -v[48:49]
	v_fma_f64 v[2:3], v[18:19], s[14:15], v[12:13]
	v_fma_f64 v[12:13], v[14:15], s[6:7], v[22:23]
	v_fma_f64 v[22:23], v[24:25], -0.5, v[84:85]
	v_add_f64 v[24:25], v[26:27], v[46:47]
	v_add_f64 v[26:27], v[44:45], -v[46:47]
	v_fma_f64 v[30:31], v[14:15], s[10:11], v[16:17]
	v_add_f64 v[42:43], v[56:57], -v[52:53]
	v_fma_f64 v[6:7], v[8:9], s[12:13], v[6:7]
	v_fma_f64 v[14:15], v[14:15], s[12:13], v[16:17]
	;; [unrolled: 1-line block ×6, first 2 shown]
	v_add_f64 v[72:73], v[151:152], v[72:73]
	v_add_f64 v[78:79], v[62:63], v[153:154]
	;; [unrolled: 1-line block ×3, first 2 shown]
	v_fma_f64 v[80:81], v[147:148], s[4:5], v[80:81]
	v_add_f64 v[16:17], v[24:25], v[50:51]
	v_add_f64 v[24:25], v[28:29], v[52:53]
	v_fma_f64 v[151:152], v[147:148], s[6:7], v[155:156]
	v_add_f64 v[26:27], v[26:27], v[32:33]
	v_fma_f64 v[28:29], v[4:5], s[4:5], v[30:31]
	v_add_f64 v[30:31], v[34:35], v[42:43]
	v_fma_f64 v[32:33], v[8:9], s[6:7], v[44:45]
	v_fma_f64 v[6:7], v[20:21], s[4:5], v[6:7]
	v_fma_f64 v[20:21], v[4:5], s[6:7], v[14:15]
	;; [unrolled: 1-line block ×5, first 2 shown]
	v_add_f64 v[62:63], v[72:73], v[66:67]
	v_fma_f64 v[66:67], v[78:79], s[14:15], v[70:71]
	v_fma_f64 v[70:71], v[78:79], s[14:15], v[145:146]
	;; [unrolled: 1-line block ×4, first 2 shown]
	v_add_f64 v[8:9], v[16:17], v[54:55]
	v_add_f64 v[10:11], v[24:25], v[56:57]
	v_fma_f64 v[68:69], v[76:77], s[14:15], v[151:152]
	v_fma_f64 v[12:13], v[26:27], s[14:15], v[28:29]
	;; [unrolled: 1-line block ×6, first 2 shown]
	v_lshlrev_b32_sdwa v20, v74, v112 dst_sel:DWORD dst_unused:UNUSED_PAD src0_sel:DWORD src1_sel:BYTE_0
	ds_write_b128 v37, v[113:116] offset:1040
	ds_write_b128 v37, v[94:97] offset:1200
	;; [unrolled: 1-line block ×9, first 2 shown]
	v_add3_u32 v20, 0, v20, v108
	v_lshlrev_b32_e32 v40, 1, v36
	ds_write_b128 v20, v[8:11] offset:1600
	ds_write_b128 v20, v[12:15] offset:1760
	;; [unrolled: 1-line block ×5, first 2 shown]
	v_lshlrev_b64 v[0:1], 4, v[40:41]
	v_mov_b32_e32 v2, s9
	v_add_co_u32_e64 v0, s[0:1], s8, v0
	v_addc_co_u32_e64 v1, s[0:1], v2, v1, s[0:1]
	s_waitcnt lgkmcnt(0)
	; wave barrier
	s_waitcnt lgkmcnt(0)
	global_load_dwordx4 v[2:5], v[0:1], off offset:640
	global_load_dwordx4 v[6:9], v[0:1], off offset:656
	v_lshlrev_b32_e32 v0, 1, v110
	v_mov_b32_e32 v1, v41
	v_lshlrev_b64 v[0:1], 4, v[0:1]
	v_mov_b32_e32 v10, s9
	v_add_co_u32_e64 v22, s[0:1], s8, v0
	v_addc_co_u32_e64 v23, s[0:1], v10, v1, s[0:1]
	global_load_dwordx4 v[10:13], v[22:23], off offset:640
	ds_read_b128 v[14:17], v37 offset:800
	ds_read_b128 v[18:21], v37 offset:880
	global_load_dwordx4 v[22:25], v[22:23], off offset:656
	v_mov_b32_e32 v26, s9
	v_mov_b32_e32 v34, s9
	;; [unrolled: 1-line block ×6, first 2 shown]
	s_mov_b32 s5, 0x3febb67a
	s_waitcnt vmcnt(3) lgkmcnt(1)
	v_mul_f64 v[0:1], v[16:17], v[4:5]
	v_mul_f64 v[4:5], v[14:15], v[4:5]
	v_fma_f64 v[0:1], v[14:15], v[2:3], v[0:1]
	v_add_u32_e32 v14, 20, v40
	v_mov_b32_e32 v15, v41
	v_lshlrev_b64 v[14:15], 4, v[14:15]
	s_waitcnt vmcnt(1) lgkmcnt(0)
	v_mul_f64 v[98:99], v[20:21], v[12:13]
	v_add_co_u32_e64 v14, s[0:1], s8, v14
	v_addc_co_u32_e64 v15, s[0:1], v26, v15, s[0:1]
	global_load_dwordx4 v[26:29], v[14:15], off offset:640
	global_load_dwordx4 v[30:33], v[14:15], off offset:656
	v_add_u32_e32 v14, 30, v40
	v_mov_b32_e32 v15, v41
	v_lshlrev_b64 v[14:15], 4, v[14:15]
	ds_read_b128 v[42:45], v37 offset:1600
	ds_read_b128 v[46:49], v37 offset:1680
	v_add_co_u32_e64 v14, s[0:1], s8, v14
	v_addc_co_u32_e64 v15, s[0:1], v34, v15, s[0:1]
	global_load_dwordx4 v[50:53], v[14:15], off offset:640
	global_load_dwordx4 v[54:57], v[14:15], off offset:656
	v_lshlrev_b32_e32 v14, 1, v109
	v_mov_b32_e32 v15, v41
	v_lshlrev_b64 v[14:15], 4, v[14:15]
	v_mul_f64 v[100:101], v[18:19], v[12:13]
	v_add_co_u32_e64 v14, s[0:1], s8, v14
	v_addc_co_u32_e64 v15, s[0:1], v34, v15, s[0:1]
	global_load_dwordx4 v[58:61], v[14:15], off offset:640
	global_load_dwordx4 v[62:65], v[14:15], off offset:656
	v_lshlrev_b32_e32 v14, 1, v111
	v_mov_b32_e32 v15, v41
	v_lshlrev_b64 v[14:15], 4, v[14:15]
	v_fma_f64 v[104:105], v[16:17], v[2:3], -v[4:5]
	v_add_co_u32_e64 v14, s[0:1], s8, v14
	v_addc_co_u32_e64 v15, s[0:1], v34, v15, s[0:1]
	global_load_dwordx4 v[66:69], v[14:15], off offset:640
	global_load_dwordx4 v[70:73], v[14:15], off offset:656
	v_add_u32_e32 v14, 60, v40
	v_mov_b32_e32 v15, v41
	v_lshlrev_b64 v[14:15], 4, v[14:15]
	s_waitcnt lgkmcnt(1)
	v_mul_f64 v[34:35], v[44:45], v[8:9]
	v_add_co_u32_e64 v14, s[0:1], s8, v14
	v_addc_co_u32_e64 v15, s[0:1], v74, v15, s[0:1]
	global_load_dwordx4 v[74:77], v[14:15], off offset:640
	global_load_dwordx4 v[78:81], v[14:15], off offset:656
	v_add_u32_e32 v14, 0x46, v40
	v_mov_b32_e32 v15, v41
	v_lshlrev_b64 v[14:15], 4, v[14:15]
	v_mul_f64 v[8:9], v[42:43], v[8:9]
	v_add_co_u32_e64 v14, s[0:1], s8, v14
	v_addc_co_u32_e64 v15, s[0:1], v82, v15, s[0:1]
	global_load_dwordx4 v[82:85], v[14:15], off offset:640
	global_load_dwordx4 v[86:89], v[14:15], off offset:656
	v_or_b32_e32 v14, 0x50, v40
	v_mov_b32_e32 v15, v41
	v_lshlrev_b64 v[14:15], 4, v[14:15]
	v_add_u32_e32 v40, 0x5a, v40
	v_add_co_u32_e64 v94, s[0:1], s8, v14
	v_addc_co_u32_e64 v95, s[0:1], v90, v15, s[0:1]
	global_load_dwordx4 v[12:15], v[94:95], off offset:640
	global_load_dwordx4 v[90:93], v[94:95], off offset:656
	v_lshlrev_b64 v[94:95], 4, v[40:41]
	v_fma_f64 v[112:113], v[20:21], v[10:11], -v[100:101]
	v_add_co_u32_e64 v102, s[0:1], s8, v94
	v_addc_co_u32_e64 v103, s[0:1], v96, v95, s[0:1]
	global_load_dwordx4 v[94:97], v[102:103], off offset:640
	global_load_dwordx4 v[2:5], v[102:103], off offset:656
	v_fma_f64 v[102:103], v[18:19], v[10:11], v[98:99]
	s_waitcnt vmcnt(16) lgkmcnt(0)
	v_mul_f64 v[10:11], v[46:47], v[24:25]
	v_fma_f64 v[108:109], v[42:43], v[6:7], v[34:35]
	v_fma_f64 v[110:111], v[44:45], v[6:7], -v[8:9]
	ds_read_b128 v[6:9], v37 offset:960
	ds_read_b128 v[16:19], v37 offset:1760
	;; [unrolled: 1-line block ×3, first 2 shown]
	v_mul_f64 v[34:35], v[48:49], v[24:25]
	ds_read_b128 v[98:101], v37 offset:1840
	s_mov_b32 s0, 0xe8584caa
	v_fma_f64 v[48:49], v[48:49], v[22:23], -v[10:11]
	s_mov_b32 s1, 0xbfebb67a
	s_mov_b32 s4, s0
	s_waitcnt vmcnt(15) lgkmcnt(3)
	v_mul_f64 v[20:21], v[8:9], v[28:29]
	v_mul_f64 v[24:25], v[6:7], v[28:29]
	s_waitcnt vmcnt(14) lgkmcnt(2)
	v_mul_f64 v[28:29], v[18:19], v[32:33]
	v_mul_f64 v[32:33], v[16:17], v[32:33]
	v_fma_f64 v[46:47], v[46:47], v[22:23], v[34:35]
	s_waitcnt vmcnt(13) lgkmcnt(1)
	v_mul_f64 v[10:11], v[42:43], v[52:53]
	v_mul_f64 v[114:115], v[44:45], v[52:53]
	v_fma_f64 v[52:53], v[6:7], v[26:27], v[20:21]
	v_fma_f64 v[116:117], v[8:9], v[26:27], -v[24:25]
	ds_read_b128 v[6:9], v37 offset:1120
	v_fma_f64 v[118:119], v[16:17], v[30:31], v[28:29]
	v_fma_f64 v[120:121], v[18:19], v[30:31], -v[32:33]
	ds_read_b128 v[16:19], v37 offset:1920
	ds_read_b128 v[20:23], v37 offset:1200
	s_waitcnt vmcnt(12) lgkmcnt(3)
	v_mul_f64 v[28:29], v[100:101], v[56:57]
	v_fma_f64 v[44:45], v[44:45], v[50:51], -v[10:11]
	v_mul_f64 v[10:11], v[98:99], v[56:57]
	v_fma_f64 v[114:115], v[42:43], v[50:51], v[114:115]
	s_waitcnt vmcnt(11) lgkmcnt(2)
	v_mul_f64 v[30:31], v[8:9], v[60:61]
	v_mul_f64 v[32:33], v[6:7], v[60:61]
	s_waitcnt vmcnt(10) lgkmcnt(1)
	v_mul_f64 v[34:35], v[18:19], v[64:65]
	v_mul_f64 v[42:43], v[16:17], v[64:65]
	ds_read_b128 v[24:27], v37 offset:2000
	v_fma_f64 v[56:57], v[98:99], v[54:55], v[28:29]
	v_fma_f64 v[54:55], v[100:101], v[54:55], -v[10:11]
	s_waitcnt vmcnt(9) lgkmcnt(1)
	v_mul_f64 v[50:51], v[22:23], v[68:69]
	v_mul_f64 v[10:11], v[20:21], v[68:69]
	v_fma_f64 v[98:99], v[6:7], v[58:59], v[30:31]
	v_fma_f64 v[100:101], v[8:9], v[58:59], -v[32:33]
	ds_read_b128 v[6:9], v37 offset:1280
	v_fma_f64 v[68:69], v[16:17], v[62:63], v[34:35]
	v_fma_f64 v[122:123], v[18:19], v[62:63], -v[42:43]
	ds_read_b128 v[16:19], v37 offset:2080
	ds_read_b128 v[28:31], v37 offset:1360
	v_fma_f64 v[124:125], v[20:21], v[66:67], v[50:51]
	s_waitcnt vmcnt(8) lgkmcnt(3)
	v_mul_f64 v[20:21], v[26:27], v[72:73]
	v_mul_f64 v[42:43], v[24:25], v[72:73]
	s_waitcnt vmcnt(7) lgkmcnt(2)
	v_mul_f64 v[50:51], v[8:9], v[76:77]
	v_mul_f64 v[58:59], v[6:7], v[76:77]
	v_fma_f64 v[66:67], v[22:23], v[66:67], -v[10:11]
	s_waitcnt vmcnt(6) lgkmcnt(1)
	v_mul_f64 v[10:11], v[16:17], v[80:81]
	ds_read_b128 v[32:35], v37 offset:2160
	v_mul_f64 v[60:61], v[18:19], v[80:81]
	v_fma_f64 v[76:77], v[24:25], v[70:71], v[20:21]
	v_fma_f64 v[70:71], v[26:27], v[70:71], -v[42:43]
	s_waitcnt vmcnt(5) lgkmcnt(1)
	v_mul_f64 v[20:21], v[30:31], v[84:85]
	v_fma_f64 v[126:127], v[6:7], v[74:75], v[50:51]
	v_fma_f64 v[80:81], v[8:9], v[74:75], -v[58:59]
	ds_read_b128 v[6:9], v37 offset:1440
	v_mul_f64 v[42:43], v[28:29], v[84:85]
	v_fma_f64 v[130:131], v[18:19], v[78:79], -v[10:11]
	s_waitcnt vmcnt(4) lgkmcnt(1)
	v_mul_f64 v[10:11], v[32:33], v[88:89]
	v_fma_f64 v[128:129], v[16:17], v[78:79], v[60:61]
	v_fma_f64 v[132:133], v[28:29], v[82:83], v[20:21]
	ds_read_b128 v[16:19], v37 offset:2240
	ds_read_b128 v[20:23], v37 offset:1520
	s_waitcnt vmcnt(3) lgkmcnt(2)
	v_mul_f64 v[28:29], v[8:9], v[14:15]
	v_mul_f64 v[14:15], v[6:7], v[14:15]
	v_fma_f64 v[134:135], v[30:31], v[82:83], -v[42:43]
	s_waitcnt vmcnt(2) lgkmcnt(1)
	v_mul_f64 v[58:59], v[18:19], v[92:93]
	v_mul_f64 v[30:31], v[16:17], v[92:93]
	v_fma_f64 v[138:139], v[34:35], v[86:87], -v[10:11]
	ds_read_b128 v[24:27], v37 offset:2320
	s_waitcnt vmcnt(1) lgkmcnt(1)
	v_mul_f64 v[10:11], v[22:23], v[96:97]
	v_mul_f64 v[50:51], v[34:35], v[88:89]
	v_fma_f64 v[140:141], v[6:7], v[12:13], v[28:29]
	v_fma_f64 v[142:143], v[8:9], v[12:13], -v[14:15]
	v_fma_f64 v[144:145], v[16:17], v[90:91], v[58:59]
	v_mul_f64 v[12:13], v[20:21], v[96:97]
	v_fma_f64 v[146:147], v[18:19], v[90:91], -v[30:31]
	s_waitcnt vmcnt(0) lgkmcnt(0)
	v_mul_f64 v[14:15], v[26:27], v[4:5]
	v_mul_f64 v[16:17], v[24:25], v[4:5]
	v_fma_f64 v[148:149], v[20:21], v[94:95], v[10:11]
	v_add_f64 v[18:19], v[0:1], v[108:109]
	v_add_f64 v[20:21], v[104:105], v[110:111]
	ds_read_b128 v[4:7], v107
	ds_read_b128 v[8:11], v37 offset:80
	v_fma_f64 v[136:137], v[32:33], v[86:87], v[50:51]
	ds_read_b128 v[32:35], v37 offset:240
	v_fma_f64 v[150:151], v[22:23], v[94:95], -v[12:13]
	v_fma_f64 v[152:153], v[24:25], v[2:3], v[14:15]
	v_fma_f64 v[154:155], v[26:27], v[2:3], -v[16:17]
	s_waitcnt lgkmcnt(2)
	v_fma_f64 v[14:15], v[18:19], -0.5, v[4:5]
	v_fma_f64 v[16:17], v[20:21], -0.5, v[6:7]
	v_add_f64 v[18:19], v[102:103], v[46:47]
	v_add_f64 v[20:21], v[112:113], v[48:49]
	s_waitcnt lgkmcnt(1)
	v_add_f64 v[22:23], v[10:11], v[112:113]
	v_add_f64 v[28:29], v[6:7], v[104:105]
	;; [unrolled: 1-line block ×3, first 2 shown]
	v_add_f64 v[6:7], v[104:105], -v[110:111]
	v_add_f64 v[0:1], v[0:1], -v[108:109]
	v_add_f64 v[24:25], v[8:9], v[102:103]
	v_fma_f64 v[26:27], v[18:19], -0.5, v[8:9]
	v_fma_f64 v[10:11], v[20:21], -0.5, v[10:11]
	v_add_f64 v[18:19], v[22:23], v[48:49]
	ds_read_b128 v[20:23], v37 offset:160
	v_add_f64 v[4:5], v[28:29], v[110:111]
	v_add_f64 v[2:3], v[30:31], v[108:109]
	v_fma_f64 v[12:13], v[6:7], s[0:1], v[14:15]
	v_fma_f64 v[6:7], v[6:7], s[4:5], v[14:15]
	;; [unrolled: 1-line block ×3, first 2 shown]
	v_add_f64 v[28:29], v[112:113], -v[48:49]
	v_add_f64 v[30:31], v[102:103], -v[46:47]
	v_fma_f64 v[8:9], v[0:1], s[0:1], v[16:17]
	v_add_f64 v[0:1], v[52:53], v[118:119]
	v_add_f64 v[42:43], v[116:117], v[120:121]
	s_waitcnt lgkmcnt(0)
	v_add_f64 v[48:49], v[20:21], v[52:53]
	v_add_f64 v[58:59], v[114:115], v[56:57]
	;; [unrolled: 1-line block ×3, first 2 shown]
	v_fma_f64 v[24:25], v[28:29], s[0:1], v[26:27]
	v_fma_f64 v[28:29], v[28:29], s[4:5], v[26:27]
	v_add_f64 v[46:47], v[22:23], v[116:117]
	v_fma_f64 v[0:1], v[0:1], -0.5, v[20:21]
	v_add_f64 v[50:51], v[116:117], -v[120:121]
	v_fma_f64 v[26:27], v[30:31], s[4:5], v[10:11]
	v_fma_f64 v[30:31], v[30:31], s[0:1], v[10:11]
	v_fma_f64 v[10:11], v[42:43], -0.5, v[22:23]
	v_add_f64 v[20:21], v[48:49], v[118:119]
	v_add_f64 v[48:49], v[52:53], -v[118:119]
	v_add_f64 v[52:53], v[44:45], v[54:55]
	v_fma_f64 v[58:59], v[58:59], -0.5, v[32:33]
	v_add_f64 v[60:61], v[34:35], v[44:45]
	v_add_f64 v[32:33], v[32:33], v[114:115]
	;; [unrolled: 1-line block ×3, first 2 shown]
	v_fma_f64 v[42:43], v[50:51], s[0:1], v[0:1]
	v_add_f64 v[62:63], v[44:45], -v[54:55]
	v_fma_f64 v[46:47], v[50:51], s[4:5], v[0:1]
	v_fma_f64 v[44:45], v[48:49], s[4:5], v[10:11]
	v_fma_f64 v[48:49], v[48:49], s[0:1], v[10:11]
	v_fma_f64 v[0:1], v[52:53], -0.5, v[34:35]
	v_add_f64 v[10:11], v[114:115], -v[56:57]
	v_add_f64 v[34:35], v[60:61], v[54:55]
	v_add_f64 v[32:33], v[32:33], v[56:57]
	ds_read_b128 v[54:57], v37 offset:320
	v_fma_f64 v[50:51], v[62:63], s[0:1], v[58:59]
	v_add_f64 v[72:73], v[98:99], v[68:69]
	v_fma_f64 v[58:59], v[62:63], s[4:5], v[58:59]
	ds_read_b128 v[62:65], v37 offset:400
	v_add_f64 v[74:75], v[100:101], v[122:123]
	v_fma_f64 v[52:53], v[10:11], s[4:5], v[0:1]
	s_waitcnt lgkmcnt(1)
	v_add_f64 v[78:79], v[56:57], v[100:101]
	v_add_f64 v[82:83], v[54:55], v[98:99]
	v_fma_f64 v[60:61], v[10:11], s[0:1], v[0:1]
	v_add_f64 v[0:1], v[124:125], v[76:77]
	v_add_f64 v[10:11], v[66:67], v[70:71]
	v_fma_f64 v[72:73], v[72:73], -0.5, v[54:55]
	v_fma_f64 v[74:75], v[74:75], -0.5, v[56:57]
	v_add_f64 v[84:85], v[100:101], -v[122:123]
	v_add_f64 v[56:57], v[78:79], v[122:123]
	v_add_f64 v[54:55], v[82:83], v[68:69]
	s_waitcnt lgkmcnt(0)
	v_add_f64 v[78:79], v[64:65], v[66:67]
	v_fma_f64 v[0:1], v[0:1], -0.5, v[62:63]
	v_add_f64 v[82:83], v[62:63], v[124:125]
	v_add_f64 v[86:87], v[66:67], -v[70:71]
	v_add_f64 v[68:69], v[98:99], -v[68:69]
	v_fma_f64 v[10:11], v[10:11], -0.5, v[64:65]
	v_fma_f64 v[62:63], v[84:85], s[0:1], v[72:73]
	v_add_f64 v[90:91], v[124:125], -v[76:77]
	v_fma_f64 v[66:67], v[84:85], s[4:5], v[72:73]
	v_add_f64 v[72:73], v[78:79], v[70:71]
	v_add_f64 v[84:85], v[126:127], v[128:129]
	;; [unrolled: 1-line block ×3, first 2 shown]
	v_fma_f64 v[78:79], v[86:87], s[0:1], v[0:1]
	v_fma_f64 v[82:83], v[86:87], s[4:5], v[0:1]
	v_add_f64 v[0:1], v[80:81], v[130:131]
	v_fma_f64 v[64:65], v[68:69], s[4:5], v[74:75]
	v_fma_f64 v[68:69], v[68:69], s[0:1], v[74:75]
	ds_read_b128 v[74:77], v37 offset:480
	ds_read_b128 v[86:89], v37 offset:560
	v_add_f64 v[96:97], v[80:81], -v[130:131]
	v_add_f64 v[98:99], v[132:133], v[136:137]
	v_add_f64 v[100:101], v[134:135], v[138:139]
	s_waitcnt lgkmcnt(1)
	v_add_f64 v[92:93], v[76:77], v[80:81]
	v_fma_f64 v[94:95], v[84:85], -0.5, v[74:75]
	v_fma_f64 v[80:81], v[90:91], s[4:5], v[10:11]
	v_fma_f64 v[84:85], v[90:91], s[0:1], v[10:11]
	v_fma_f64 v[0:1], v[0:1], -0.5, v[76:77]
	v_add_f64 v[10:11], v[126:127], -v[128:129]
	v_add_f64 v[74:75], v[74:75], v[126:127]
	s_waitcnt lgkmcnt(0)
	v_add_f64 v[102:103], v[88:89], v[134:135]
	v_add_f64 v[76:77], v[92:93], v[130:131]
	v_fma_f64 v[90:91], v[96:97], s[0:1], v[94:95]
	v_add_f64 v[104:105], v[86:87], v[132:133]
	v_fma_f64 v[94:95], v[96:97], s[4:5], v[94:95]
	v_fma_f64 v[107:108], v[98:99], -0.5, v[86:87]
	v_fma_f64 v[92:93], v[10:11], s[4:5], v[0:1]
	v_add_f64 v[109:110], v[134:135], -v[138:139]
	v_fma_f64 v[96:97], v[10:11], s[0:1], v[0:1]
	v_fma_f64 v[0:1], v[100:101], -0.5, v[88:89]
	v_add_f64 v[10:11], v[132:133], -v[136:137]
	ds_read_b128 v[98:101], v37 offset:640
	ds_read_b128 v[111:114], v37 offset:720
	v_add_f64 v[74:75], v[74:75], v[128:129]
	v_add_f64 v[88:89], v[102:103], v[138:139]
	;; [unrolled: 1-line block ×4, first 2 shown]
	v_fma_f64 v[102:103], v[109:110], s[0:1], v[107:108]
	v_fma_f64 v[107:108], v[109:110], s[4:5], v[107:108]
	v_add_f64 v[117:118], v[142:143], v[146:147]
	s_waitcnt lgkmcnt(1)
	v_add_f64 v[119:120], v[100:101], v[142:143]
	v_fma_f64 v[104:105], v[10:11], s[4:5], v[0:1]
	v_add_f64 v[121:122], v[98:99], v[140:141]
	v_add_f64 v[127:128], v[148:149], v[152:153]
	v_fma_f64 v[109:110], v[10:11], s[0:1], v[0:1]
	v_add_f64 v[10:11], v[150:151], v[154:155]
	v_fma_f64 v[123:124], v[115:116], -0.5, v[98:99]
	v_add_f64 v[125:126], v[142:143], -v[146:147]
	v_fma_f64 v[0:1], v[117:118], -0.5, v[100:101]
	v_add_f64 v[100:101], v[119:120], v[146:147]
	v_add_f64 v[98:99], v[121:122], v[144:145]
	v_add_f64 v[119:120], v[140:141], -v[144:145]
	s_waitcnt lgkmcnt(0)
	v_fma_f64 v[127:128], v[127:128], -0.5, v[111:112]
	v_add_f64 v[121:122], v[113:114], v[150:151]
	v_add_f64 v[129:130], v[111:112], v[148:149]
	v_add_f64 v[131:132], v[150:151], -v[154:155]
	v_fma_f64 v[10:11], v[10:11], -0.5, v[113:114]
	v_add_f64 v[133:134], v[148:149], -v[152:153]
	v_fma_f64 v[115:116], v[125:126], s[0:1], v[123:124]
	v_fma_f64 v[111:112], v[125:126], s[4:5], v[123:124]
	;; [unrolled: 1-line block ×4, first 2 shown]
	v_add_f64 v[121:122], v[121:122], v[154:155]
	v_add_f64 v[119:120], v[129:130], v[152:153]
	v_fma_f64 v[123:124], v[131:132], s[0:1], v[127:128]
	v_fma_f64 v[127:128], v[131:132], s[4:5], v[127:128]
	;; [unrolled: 1-line block ×4, first 2 shown]
	s_waitcnt lgkmcnt(0)
	; wave barrier
	ds_write_b128 v37, v[2:5]
	ds_write_b128 v37, v[12:15] offset:800
	ds_write_b128 v37, v[6:9] offset:1600
	;; [unrolled: 1-line block ×29, first 2 shown]
	s_waitcnt lgkmcnt(0)
	; wave barrier
	s_waitcnt lgkmcnt(0)
	s_and_saveexec_b64 s[0:1], vcc
	s_cbranch_execz .LBB0_18
; %bb.17:
	v_lshl_add_u32 v10, v36, 4, v106
	v_mov_b32_e32 v37, v41
	ds_read_b128 v[0:3], v10
	v_mov_b32_e32 v4, s3
	v_add_co_u32_e32 v11, vcc, s2, v38
	v_addc_co_u32_e32 v12, vcc, v4, v39, vcc
	v_lshlrev_b64 v[4:5], 4, v[36:37]
	v_add_u32_e32 v40, 5, v36
	v_add_co_u32_e32 v8, vcc, v11, v4
	v_addc_co_u32_e32 v9, vcc, v12, v5, vcc
	ds_read_b128 v[4:7], v10 offset:80
	s_waitcnt lgkmcnt(1)
	global_store_dwordx4 v[8:9], v[0:3], off
	s_nop 0
	v_lshlrev_b64 v[0:1], 4, v[40:41]
	v_add_u32_e32 v40, 10, v36
	v_add_co_u32_e32 v0, vcc, v11, v0
	v_addc_co_u32_e32 v1, vcc, v12, v1, vcc
	s_waitcnt lgkmcnt(0)
	global_store_dwordx4 v[0:1], v[4:7], off
	ds_read_b128 v[0:3], v10 offset:160
	v_lshlrev_b64 v[4:5], 4, v[40:41]
	v_add_u32_e32 v40, 15, v36
	v_add_co_u32_e32 v8, vcc, v11, v4
	v_addc_co_u32_e32 v9, vcc, v12, v5, vcc
	ds_read_b128 v[4:7], v10 offset:240
	s_waitcnt lgkmcnt(1)
	global_store_dwordx4 v[8:9], v[0:3], off
	s_nop 0
	v_lshlrev_b64 v[0:1], 4, v[40:41]
	v_add_u32_e32 v40, 20, v36
	v_add_co_u32_e32 v0, vcc, v11, v0
	v_addc_co_u32_e32 v1, vcc, v12, v1, vcc
	s_waitcnt lgkmcnt(0)
	global_store_dwordx4 v[0:1], v[4:7], off
	ds_read_b128 v[0:3], v10 offset:320
	;; [unrolled: 15-line block ×14, first 2 shown]
	v_lshlrev_b64 v[4:5], 4, v[40:41]
	v_add_u32_e32 v40, 0x91, v36
	v_add_co_u32_e32 v8, vcc, v11, v4
	v_addc_co_u32_e32 v9, vcc, v12, v5, vcc
	ds_read_b128 v[4:7], v10 offset:2320
	s_waitcnt lgkmcnt(1)
	global_store_dwordx4 v[8:9], v[0:3], off
	s_nop 0
	v_lshlrev_b64 v[0:1], 4, v[40:41]
	v_add_co_u32_e32 v0, vcc, v11, v0
	v_addc_co_u32_e32 v1, vcc, v12, v1, vcc
	s_waitcnt lgkmcnt(0)
	global_store_dwordx4 v[0:1], v[4:7], off
.LBB0_18:
	s_endpgm
	.section	.rodata,"a",@progbits
	.p2align	6, 0x0
	.amdhsa_kernel fft_rtc_back_len150_factors_10_5_3_wgs_60_tpt_5_halfLds_dp_ip_CI_unitstride_sbrr_C2R_dirReg
		.amdhsa_group_segment_fixed_size 0
		.amdhsa_private_segment_fixed_size 0
		.amdhsa_kernarg_size 88
		.amdhsa_user_sgpr_count 6
		.amdhsa_user_sgpr_private_segment_buffer 1
		.amdhsa_user_sgpr_dispatch_ptr 0
		.amdhsa_user_sgpr_queue_ptr 0
		.amdhsa_user_sgpr_kernarg_segment_ptr 1
		.amdhsa_user_sgpr_dispatch_id 0
		.amdhsa_user_sgpr_flat_scratch_init 0
		.amdhsa_user_sgpr_private_segment_size 0
		.amdhsa_uses_dynamic_stack 0
		.amdhsa_system_sgpr_private_segment_wavefront_offset 0
		.amdhsa_system_sgpr_workgroup_id_x 1
		.amdhsa_system_sgpr_workgroup_id_y 0
		.amdhsa_system_sgpr_workgroup_id_z 0
		.amdhsa_system_sgpr_workgroup_info 0
		.amdhsa_system_vgpr_workitem_id 0
		.amdhsa_next_free_vgpr 253
		.amdhsa_next_free_sgpr 22
		.amdhsa_reserve_vcc 1
		.amdhsa_reserve_flat_scratch 0
		.amdhsa_float_round_mode_32 0
		.amdhsa_float_round_mode_16_64 0
		.amdhsa_float_denorm_mode_32 3
		.amdhsa_float_denorm_mode_16_64 3
		.amdhsa_dx10_clamp 1
		.amdhsa_ieee_mode 1
		.amdhsa_fp16_overflow 0
		.amdhsa_exception_fp_ieee_invalid_op 0
		.amdhsa_exception_fp_denorm_src 0
		.amdhsa_exception_fp_ieee_div_zero 0
		.amdhsa_exception_fp_ieee_overflow 0
		.amdhsa_exception_fp_ieee_underflow 0
		.amdhsa_exception_fp_ieee_inexact 0
		.amdhsa_exception_int_div_zero 0
	.end_amdhsa_kernel
	.text
.Lfunc_end0:
	.size	fft_rtc_back_len150_factors_10_5_3_wgs_60_tpt_5_halfLds_dp_ip_CI_unitstride_sbrr_C2R_dirReg, .Lfunc_end0-fft_rtc_back_len150_factors_10_5_3_wgs_60_tpt_5_halfLds_dp_ip_CI_unitstride_sbrr_C2R_dirReg
                                        ; -- End function
	.section	.AMDGPU.csdata,"",@progbits
; Kernel info:
; codeLenInByte = 17120
; NumSgprs: 26
; NumVgprs: 253
; ScratchSize: 0
; MemoryBound: 0
; FloatMode: 240
; IeeeMode: 1
; LDSByteSize: 0 bytes/workgroup (compile time only)
; SGPRBlocks: 3
; VGPRBlocks: 63
; NumSGPRsForWavesPerEU: 26
; NumVGPRsForWavesPerEU: 253
; Occupancy: 1
; WaveLimiterHint : 1
; COMPUTE_PGM_RSRC2:SCRATCH_EN: 0
; COMPUTE_PGM_RSRC2:USER_SGPR: 6
; COMPUTE_PGM_RSRC2:TRAP_HANDLER: 0
; COMPUTE_PGM_RSRC2:TGID_X_EN: 1
; COMPUTE_PGM_RSRC2:TGID_Y_EN: 0
; COMPUTE_PGM_RSRC2:TGID_Z_EN: 0
; COMPUTE_PGM_RSRC2:TIDIG_COMP_CNT: 0
	.type	__hip_cuid_552aa3ae44c9aed1,@object ; @__hip_cuid_552aa3ae44c9aed1
	.section	.bss,"aw",@nobits
	.globl	__hip_cuid_552aa3ae44c9aed1
__hip_cuid_552aa3ae44c9aed1:
	.byte	0                               ; 0x0
	.size	__hip_cuid_552aa3ae44c9aed1, 1

	.ident	"AMD clang version 19.0.0git (https://github.com/RadeonOpenCompute/llvm-project roc-6.4.0 25133 c7fe45cf4b819c5991fe208aaa96edf142730f1d)"
	.section	".note.GNU-stack","",@progbits
	.addrsig
	.addrsig_sym __hip_cuid_552aa3ae44c9aed1
	.amdgpu_metadata
---
amdhsa.kernels:
  - .args:
      - .actual_access:  read_only
        .address_space:  global
        .offset:         0
        .size:           8
        .value_kind:     global_buffer
      - .offset:         8
        .size:           8
        .value_kind:     by_value
      - .actual_access:  read_only
        .address_space:  global
        .offset:         16
        .size:           8
        .value_kind:     global_buffer
      - .actual_access:  read_only
        .address_space:  global
        .offset:         24
        .size:           8
        .value_kind:     global_buffer
      - .offset:         32
        .size:           8
        .value_kind:     by_value
      - .actual_access:  read_only
        .address_space:  global
        .offset:         40
        .size:           8
        .value_kind:     global_buffer
      - .actual_access:  read_only
        .address_space:  global
        .offset:         48
        .size:           8
        .value_kind:     global_buffer
      - .offset:         56
        .size:           4
        .value_kind:     by_value
      - .actual_access:  read_only
        .address_space:  global
        .offset:         64
        .size:           8
        .value_kind:     global_buffer
      - .actual_access:  read_only
        .address_space:  global
        .offset:         72
        .size:           8
        .value_kind:     global_buffer
      - .address_space:  global
        .offset:         80
        .size:           8
        .value_kind:     global_buffer
    .group_segment_fixed_size: 0
    .kernarg_segment_align: 8
    .kernarg_segment_size: 88
    .language:       OpenCL C
    .language_version:
      - 2
      - 0
    .max_flat_workgroup_size: 60
    .name:           fft_rtc_back_len150_factors_10_5_3_wgs_60_tpt_5_halfLds_dp_ip_CI_unitstride_sbrr_C2R_dirReg
    .private_segment_fixed_size: 0
    .sgpr_count:     26
    .sgpr_spill_count: 0
    .symbol:         fft_rtc_back_len150_factors_10_5_3_wgs_60_tpt_5_halfLds_dp_ip_CI_unitstride_sbrr_C2R_dirReg.kd
    .uniform_work_group_size: 1
    .uses_dynamic_stack: false
    .vgpr_count:     253
    .vgpr_spill_count: 0
    .wavefront_size: 64
amdhsa.target:   amdgcn-amd-amdhsa--gfx906
amdhsa.version:
  - 1
  - 2
...

	.end_amdgpu_metadata
